;; amdgpu-corpus repo=ROCm/rocFFT kind=compiled arch=gfx1030 opt=O3
	.text
	.amdgcn_target "amdgcn-amd-amdhsa--gfx1030"
	.amdhsa_code_object_version 6
	.protected	fft_rtc_fwd_len924_factors_2_2_3_7_11_wgs_44_tpt_44_halfLds_half_ip_CI_unitstride_sbrr_R2C_dirReg ; -- Begin function fft_rtc_fwd_len924_factors_2_2_3_7_11_wgs_44_tpt_44_halfLds_half_ip_CI_unitstride_sbrr_R2C_dirReg
	.globl	fft_rtc_fwd_len924_factors_2_2_3_7_11_wgs_44_tpt_44_halfLds_half_ip_CI_unitstride_sbrr_R2C_dirReg
	.p2align	8
	.type	fft_rtc_fwd_len924_factors_2_2_3_7_11_wgs_44_tpt_44_halfLds_half_ip_CI_unitstride_sbrr_R2C_dirReg,@function
fft_rtc_fwd_len924_factors_2_2_3_7_11_wgs_44_tpt_44_halfLds_half_ip_CI_unitstride_sbrr_R2C_dirReg: ; @fft_rtc_fwd_len924_factors_2_2_3_7_11_wgs_44_tpt_44_halfLds_half_ip_CI_unitstride_sbrr_R2C_dirReg
; %bb.0:
	s_clause 0x2
	s_load_dwordx4 s[8:11], s[4:5], 0x0
	s_load_dwordx2 s[2:3], s[4:5], 0x50
	s_load_dwordx2 s[12:13], s[4:5], 0x18
	v_mul_u32_u24_e32 v1, 0x5d2, v0
	v_mov_b32_e32 v3, 0
	v_add_nc_u32_sdwa v5, s6, v1 dst_sel:DWORD dst_unused:UNUSED_PAD src0_sel:DWORD src1_sel:WORD_1
	v_mov_b32_e32 v1, 0
	v_mov_b32_e32 v6, v3
	v_mov_b32_e32 v2, 0
	s_waitcnt lgkmcnt(0)
	v_cmp_lt_u64_e64 s0, s[10:11], 2
	s_and_b32 vcc_lo, exec_lo, s0
	s_cbranch_vccnz .LBB0_8
; %bb.1:
	s_load_dwordx2 s[0:1], s[4:5], 0x10
	v_mov_b32_e32 v1, 0
	s_add_u32 s6, s12, 8
	v_mov_b32_e32 v2, 0
	s_addc_u32 s7, s13, 0
	s_mov_b64 s[16:17], 1
	s_waitcnt lgkmcnt(0)
	s_add_u32 s14, s0, 8
	s_addc_u32 s15, s1, 0
.LBB0_2:                                ; =>This Inner Loop Header: Depth=1
	s_load_dwordx2 s[18:19], s[14:15], 0x0
                                        ; implicit-def: $vgpr9_vgpr10
	s_mov_b32 s0, exec_lo
	s_waitcnt lgkmcnt(0)
	v_or_b32_e32 v4, s19, v6
	v_cmpx_ne_u64_e32 0, v[3:4]
	s_xor_b32 s1, exec_lo, s0
	s_cbranch_execz .LBB0_4
; %bb.3:                                ;   in Loop: Header=BB0_2 Depth=1
	v_cvt_f32_u32_e32 v4, s18
	v_cvt_f32_u32_e32 v7, s19
	s_sub_u32 s0, 0, s18
	s_subb_u32 s20, 0, s19
	v_fmac_f32_e32 v4, 0x4f800000, v7
	v_rcp_f32_e32 v4, v4
	v_mul_f32_e32 v4, 0x5f7ffffc, v4
	v_mul_f32_e32 v7, 0x2f800000, v4
	v_trunc_f32_e32 v7, v7
	v_fmac_f32_e32 v4, 0xcf800000, v7
	v_cvt_u32_f32_e32 v7, v7
	v_cvt_u32_f32_e32 v4, v4
	v_mul_lo_u32 v8, s0, v7
	v_mul_hi_u32 v9, s0, v4
	v_mul_lo_u32 v10, s20, v4
	v_add_nc_u32_e32 v8, v9, v8
	v_mul_lo_u32 v9, s0, v4
	v_add_nc_u32_e32 v8, v8, v10
	v_mul_hi_u32 v10, v4, v9
	v_mul_lo_u32 v11, v4, v8
	v_mul_hi_u32 v12, v4, v8
	v_mul_hi_u32 v13, v7, v9
	v_mul_lo_u32 v9, v7, v9
	v_mul_hi_u32 v14, v7, v8
	v_mul_lo_u32 v8, v7, v8
	v_add_co_u32 v10, vcc_lo, v10, v11
	v_add_co_ci_u32_e32 v11, vcc_lo, 0, v12, vcc_lo
	v_add_co_u32 v9, vcc_lo, v10, v9
	v_add_co_ci_u32_e32 v9, vcc_lo, v11, v13, vcc_lo
	v_add_co_ci_u32_e32 v10, vcc_lo, 0, v14, vcc_lo
	v_add_co_u32 v8, vcc_lo, v9, v8
	v_add_co_ci_u32_e32 v9, vcc_lo, 0, v10, vcc_lo
	v_add_co_u32 v4, vcc_lo, v4, v8
	v_add_co_ci_u32_e32 v7, vcc_lo, v7, v9, vcc_lo
	v_mul_hi_u32 v8, s0, v4
	v_mul_lo_u32 v10, s20, v4
	v_mul_lo_u32 v9, s0, v7
	v_add_nc_u32_e32 v8, v8, v9
	v_mul_lo_u32 v9, s0, v4
	v_add_nc_u32_e32 v8, v8, v10
	v_mul_hi_u32 v10, v4, v9
	v_mul_lo_u32 v11, v4, v8
	v_mul_hi_u32 v12, v4, v8
	v_mul_hi_u32 v13, v7, v9
	v_mul_lo_u32 v9, v7, v9
	v_mul_hi_u32 v14, v7, v8
	v_mul_lo_u32 v8, v7, v8
	v_add_co_u32 v10, vcc_lo, v10, v11
	v_add_co_ci_u32_e32 v11, vcc_lo, 0, v12, vcc_lo
	v_add_co_u32 v9, vcc_lo, v10, v9
	v_add_co_ci_u32_e32 v9, vcc_lo, v11, v13, vcc_lo
	v_add_co_ci_u32_e32 v10, vcc_lo, 0, v14, vcc_lo
	v_add_co_u32 v8, vcc_lo, v9, v8
	v_add_co_ci_u32_e32 v9, vcc_lo, 0, v10, vcc_lo
	v_add_co_u32 v4, vcc_lo, v4, v8
	v_add_co_ci_u32_e32 v11, vcc_lo, v7, v9, vcc_lo
	v_mul_hi_u32 v13, v5, v4
	v_mad_u64_u32 v[9:10], null, v6, v4, 0
	v_mad_u64_u32 v[7:8], null, v5, v11, 0
	;; [unrolled: 1-line block ×3, first 2 shown]
	v_add_co_u32 v4, vcc_lo, v13, v7
	v_add_co_ci_u32_e32 v7, vcc_lo, 0, v8, vcc_lo
	v_add_co_u32 v4, vcc_lo, v4, v9
	v_add_co_ci_u32_e32 v4, vcc_lo, v7, v10, vcc_lo
	v_add_co_ci_u32_e32 v7, vcc_lo, 0, v12, vcc_lo
	v_add_co_u32 v4, vcc_lo, v4, v11
	v_add_co_ci_u32_e32 v9, vcc_lo, 0, v7, vcc_lo
	v_mul_lo_u32 v10, s19, v4
	v_mad_u64_u32 v[7:8], null, s18, v4, 0
	v_mul_lo_u32 v11, s18, v9
	v_sub_co_u32 v7, vcc_lo, v5, v7
	v_add3_u32 v8, v8, v11, v10
	v_sub_nc_u32_e32 v10, v6, v8
	v_subrev_co_ci_u32_e64 v10, s0, s19, v10, vcc_lo
	v_add_co_u32 v11, s0, v4, 2
	v_add_co_ci_u32_e64 v12, s0, 0, v9, s0
	v_sub_co_u32 v13, s0, v7, s18
	v_sub_co_ci_u32_e32 v8, vcc_lo, v6, v8, vcc_lo
	v_subrev_co_ci_u32_e64 v10, s0, 0, v10, s0
	v_cmp_le_u32_e32 vcc_lo, s18, v13
	v_cmp_eq_u32_e64 s0, s19, v8
	v_cndmask_b32_e64 v13, 0, -1, vcc_lo
	v_cmp_le_u32_e32 vcc_lo, s19, v10
	v_cndmask_b32_e64 v14, 0, -1, vcc_lo
	v_cmp_le_u32_e32 vcc_lo, s18, v7
	;; [unrolled: 2-line block ×3, first 2 shown]
	v_cndmask_b32_e64 v15, 0, -1, vcc_lo
	v_cmp_eq_u32_e32 vcc_lo, s19, v10
	v_cndmask_b32_e64 v7, v15, v7, s0
	v_cndmask_b32_e32 v10, v14, v13, vcc_lo
	v_add_co_u32 v13, vcc_lo, v4, 1
	v_add_co_ci_u32_e32 v14, vcc_lo, 0, v9, vcc_lo
	v_cmp_ne_u32_e32 vcc_lo, 0, v10
	v_cndmask_b32_e32 v8, v14, v12, vcc_lo
	v_cndmask_b32_e32 v11, v13, v11, vcc_lo
	v_cmp_ne_u32_e32 vcc_lo, 0, v7
	v_cndmask_b32_e32 v10, v9, v8, vcc_lo
	v_cndmask_b32_e32 v9, v4, v11, vcc_lo
.LBB0_4:                                ;   in Loop: Header=BB0_2 Depth=1
	s_andn2_saveexec_b32 s0, s1
	s_cbranch_execz .LBB0_6
; %bb.5:                                ;   in Loop: Header=BB0_2 Depth=1
	v_cvt_f32_u32_e32 v4, s18
	s_sub_i32 s1, 0, s18
	v_mov_b32_e32 v10, v3
	v_rcp_iflag_f32_e32 v4, v4
	v_mul_f32_e32 v4, 0x4f7ffffe, v4
	v_cvt_u32_f32_e32 v4, v4
	v_mul_lo_u32 v7, s1, v4
	v_mul_hi_u32 v7, v4, v7
	v_add_nc_u32_e32 v4, v4, v7
	v_mul_hi_u32 v4, v5, v4
	v_mul_lo_u32 v7, v4, s18
	v_add_nc_u32_e32 v8, 1, v4
	v_sub_nc_u32_e32 v7, v5, v7
	v_subrev_nc_u32_e32 v9, s18, v7
	v_cmp_le_u32_e32 vcc_lo, s18, v7
	v_cndmask_b32_e32 v7, v7, v9, vcc_lo
	v_cndmask_b32_e32 v4, v4, v8, vcc_lo
	v_cmp_le_u32_e32 vcc_lo, s18, v7
	v_add_nc_u32_e32 v8, 1, v4
	v_cndmask_b32_e32 v9, v4, v8, vcc_lo
.LBB0_6:                                ;   in Loop: Header=BB0_2 Depth=1
	s_or_b32 exec_lo, exec_lo, s0
	s_load_dwordx2 s[0:1], s[6:7], 0x0
	v_mul_lo_u32 v4, v10, s18
	v_mul_lo_u32 v11, v9, s19
	v_mad_u64_u32 v[7:8], null, v9, s18, 0
	s_add_u32 s16, s16, 1
	s_addc_u32 s17, s17, 0
	s_add_u32 s6, s6, 8
	s_addc_u32 s7, s7, 0
	;; [unrolled: 2-line block ×3, first 2 shown]
	v_add3_u32 v4, v8, v11, v4
	v_sub_co_u32 v5, vcc_lo, v5, v7
	v_sub_co_ci_u32_e32 v4, vcc_lo, v6, v4, vcc_lo
	s_waitcnt lgkmcnt(0)
	v_mul_lo_u32 v6, s1, v5
	v_mul_lo_u32 v4, s0, v4
	v_mad_u64_u32 v[1:2], null, s0, v5, v[1:2]
	v_cmp_ge_u64_e64 s0, s[16:17], s[10:11]
	s_and_b32 vcc_lo, exec_lo, s0
	v_add3_u32 v2, v6, v2, v4
	s_cbranch_vccnz .LBB0_9
; %bb.7:                                ;   in Loop: Header=BB0_2 Depth=1
	v_mov_b32_e32 v5, v9
	v_mov_b32_e32 v6, v10
	s_branch .LBB0_2
.LBB0_8:
	v_mov_b32_e32 v10, v6
	v_mov_b32_e32 v9, v5
.LBB0_9:
	s_lshl_b64 s[0:1], s[10:11], 3
	v_mul_hi_u32 v3, 0x5d1745e, v0
	s_add_u32 s0, s12, s0
	s_addc_u32 s1, s13, s1
	s_load_dwordx2 s[4:5], s[4:5], 0x20
	s_load_dwordx2 s[0:1], s[0:1], 0x0
	v_mul_u32_u24_e32 v3, 44, v3
	v_sub_nc_u32_e32 v8, v0, v3
	v_add_nc_u32_e32 v12, 44, v8
	v_add_nc_u32_e32 v26, 0x58, v8
	;; [unrolled: 1-line block ×5, first 2 shown]
	s_waitcnt lgkmcnt(0)
	v_cmp_gt_u64_e32 vcc_lo, s[4:5], v[9:10]
	v_mul_lo_u32 v3, s0, v10
	v_mul_lo_u32 v4, s1, v9
	v_mad_u64_u32 v[0:1], null, s0, v9, v[1:2]
	v_cmp_le_u64_e64 s0, s[4:5], v[9:10]
	v_add_nc_u32_e32 v22, 0x108, v8
	v_add_nc_u32_e32 v19, 0x134, v8
	;; [unrolled: 1-line block ×5, first 2 shown]
	v_add3_u32 v1, v4, v1, v3
	s_and_saveexec_b32 s1, s0
	s_xor_b32 s0, exec_lo, s1
; %bb.10:
	v_add_nc_u32_e32 v12, 44, v8
	v_add_nc_u32_e32 v26, 0x58, v8
	;; [unrolled: 1-line block ×10, first 2 shown]
; %bb.11:
	s_or_saveexec_b32 s1, s0
	v_lshlrev_b64 v[16:17], 2, v[0:1]
	v_or_b32_e32 v10, 0x2c0, v8
	s_xor_b32 exec_lo, exec_lo, s1
	s_cbranch_execz .LBB0_13
; %bb.12:
	v_mov_b32_e32 v9, 0
	v_add_co_u32 v6, s0, s2, v16
	v_add_co_ci_u32_e64 v7, s0, s3, v17, s0
	v_lshlrev_b64 v[0:1], 2, v[8:9]
	v_mov_b32_e32 v11, v9
	v_lshlrev_b64 v[2:3], 2, v[10:11]
	v_add_co_u32 v0, s0, v6, v0
	v_add_co_ci_u32_e64 v1, s0, v7, v1, s0
	s_clause 0x7
	global_load_dword v9, v[0:1], off
	global_load_dword v13, v[0:1], off offset:176
	global_load_dword v15, v[0:1], off offset:352
	;; [unrolled: 1-line block ×7, first 2 shown]
	v_add_co_u32 v4, s0, 0x800, v0
	v_add_co_ci_u32_e64 v5, s0, 0, v1, s0
	v_add_co_u32 v2, s0, v6, v2
	v_add_co_ci_u32_e64 v3, s0, v7, v3, s0
	s_clause 0xc
	global_load_dword v6, v[0:1], off offset:1408
	global_load_dword v7, v[0:1], off offset:1584
	global_load_dword v11, v[0:1], off offset:1760
	global_load_dword v0, v[0:1], off offset:1936
	global_load_dword v1, v[4:5], off offset:64
	global_load_dword v31, v[4:5], off offset:240
	global_load_dword v32, v[4:5], off offset:416
	global_load_dword v33, v[4:5], off offset:592
	global_load_dword v2, v[2:3], off
	global_load_dword v3, v[4:5], off offset:944
	global_load_dword v34, v[4:5], off offset:1120
	;; [unrolled: 1-line block ×4, first 2 shown]
	v_lshl_add_u32 v5, v8, 2, 0
	v_add_nc_u32_e32 v36, 0x400, v5
	v_add_nc_u32_e32 v37, 0x800, v5
	;; [unrolled: 1-line block ×3, first 2 shown]
	s_waitcnt vmcnt(19)
	ds_write2_b32 v5, v9, v13 offset1:44
	s_waitcnt vmcnt(17)
	ds_write2_b32 v5, v15, v20 offset0:88 offset1:132
	s_waitcnt vmcnt(15)
	ds_write2_b32 v5, v27, v28 offset0:176 offset1:220
	;; [unrolled: 2-line block ×9, first 2 shown]
	s_waitcnt vmcnt(0)
	ds_write_b32 v5, v4 offset:3520
.LBB0_13:
	s_or_b32 exec_lo, exec_lo, s1
	v_lshlrev_b32_e32 v9, 2, v8
	s_waitcnt lgkmcnt(0)
	s_barrier
	buffer_gl0_inv
	v_lshl_add_u32 v31, v12, 3, 0
	v_add_nc_u32_e32 v49, 0, v9
	v_lshl_add_u32 v32, v26, 3, 0
	v_lshl_add_u32 v33, v25, 3, 0
	;; [unrolled: 1-line block ×4, first 2 shown]
	v_add_nc_u32_e32 v0, 0x400, v49
	v_add_nc_u32_e32 v27, 0xc00, v49
	;; [unrolled: 1-line block ×4, first 2 shown]
	v_lshl_add_u32 v36, v22, 3, 0
	ds_read2_b32 v[3:4], v0 offset0:184 offset1:206
	ds_read2_b32 v[5:6], v27 offset0:90 offset1:134
	ds_read2_b32 v[38:39], v0 offset0:96 offset1:140
	ds_read2_b32 v[40:41], v27 offset0:2 offset1:46
	ds_read2_b32 v[42:43], v0 offset0:8 offset1:52
	ds_read2_b32 v[44:45], v2 offset0:170 offset1:214
	ds_read2_b32 v[46:47], v49 offset0:176 offset1:220
	ds_read2_b32 v[50:51], v2 offset0:82 offset1:126
	ds_read2_b32 v[52:53], v49 offset0:88 offset1:132
	ds_read2_b32 v[54:55], v1 offset0:122 offset1:166
	ds_read2_b32 v[56:57], v49 offset1:44
	v_lshl_add_u32 v15, v19, 3, 0
	v_lshl_add_u32 v11, v21, 3, 0
	;; [unrolled: 1-line block ×3, first 2 shown]
	v_add_nc_u32_e32 v1, v49, v9
	v_cmp_gt_u32_e64 s0, 22, v8
	s_waitcnt lgkmcnt(0)
	s_barrier
	buffer_gl0_inv
	v_pk_add_f16 v20, v3, v6 neg_lo:[0,1] neg_hi:[0,1]
	v_pk_add_f16 v5, v39, v5 neg_lo:[0,1] neg_hi:[0,1]
	;; [unrolled: 1-line block ×6, first 2 shown]
	v_pk_fma_f16 v37, v3, 2.0, v20 op_sel_hi:[1,0,1] neg_lo:[0,0,1] neg_hi:[0,0,1]
	v_pk_add_f16 v4, v56, v4 neg_lo:[0,1] neg_hi:[0,1]
	v_pk_add_f16 v44, v57, v54 neg_lo:[0,1] neg_hi:[0,1]
	v_pk_fma_f16 v30, v38, 2.0, v6 op_sel_hi:[1,0,1] neg_lo:[0,0,1] neg_hi:[0,0,1]
	v_pk_fma_f16 v38, v43, 2.0, v7 op_sel_hi:[1,0,1] neg_lo:[0,0,1] neg_hi:[0,0,1]
	v_pk_add_f16 v43, v52, v55 neg_lo:[0,1] neg_hi:[0,1]
	v_pk_fma_f16 v3, v39, 2.0, v5 op_sel_hi:[1,0,1] neg_lo:[0,0,1] neg_hi:[0,0,1]
	v_pk_fma_f16 v39, v42, 2.0, v13 op_sel_hi:[1,0,1] neg_lo:[0,0,1] neg_hi:[0,0,1]
	v_pk_add_f16 v41, v46, v51 neg_lo:[0,1] neg_hi:[0,1]
	v_pk_add_f16 v42, v53, v50 neg_lo:[0,1] neg_hi:[0,1]
	v_pk_fma_f16 v48, v56, 2.0, v4 op_sel_hi:[1,0,1] neg_lo:[0,0,1] neg_hi:[0,0,1]
	v_pk_fma_f16 v50, v57, 2.0, v44 op_sel_hi:[1,0,1] neg_lo:[0,0,1] neg_hi:[0,0,1]
	;; [unrolled: 1-line block ×6, first 2 shown]
	ds_write2_b32 v1, v48, v4 offset1:1
	ds_write2_b32 v31, v50, v44 offset1:1
	ds_write2_b32 v32, v47, v43 offset1:1
	ds_write2_b32 v33, v46, v42 offset1:1
	ds_write2_b32 v34, v45, v41 offset1:1
	ds_write2_b32 v35, v40, v28 offset1:1
	ds_write2_b32 v36, v39, v13 offset1:1
	ds_write2_b32 v15, v38, v7 offset1:1
	ds_write2_b32 v11, v30, v6 offset1:1
	ds_write2_b32 v29, v3, v5 offset1:1
	s_and_saveexec_b32 s1, s0
	s_cbranch_execz .LBB0_15
; %bb.14:
	v_lshl_add_u32 v1, v14, 3, 0
	ds_write2_b32 v1, v37, v20 offset1:1
.LBB0_15:
	s_or_b32 exec_lo, exec_lo, s1
	v_lshlrev_b32_e32 v30, 2, v12
	v_lshlrev_b32_e32 v38, 2, v26
	;; [unrolled: 1-line block ×9, first 2 shown]
	v_add_nc_u32_e32 v6, 0xa00, v49
	v_sub_nc_u32_e32 v28, v31, v30
	v_sub_nc_u32_e32 v39, v32, v38
	v_sub_nc_u32_e32 v43, v33, v40
	v_sub_nc_u32_e32 v50, v34, v41
	v_sub_nc_u32_e32 v52, v35, v42
	v_sub_nc_u32_e32 v53, v36, v44
	v_sub_nc_u32_e32 v54, v15, v59
	v_sub_nc_u32_e32 v55, v11, v13
	v_sub_nc_u32_e32 v56, v29, v60
	s_waitcnt lgkmcnt(0)
	s_barrier
	buffer_gl0_inv
	ds_read2_b32 v[0:1], v0 offset0:206 offset1:250
	ds_read2_b32 v[4:5], v2 offset0:38 offset1:82
	;; [unrolled: 1-line block ×4, first 2 shown]
	ds_read_b32 v45, v49
	ds_read_b32 v46, v28
	;; [unrolled: 1-line block ×8, first 2 shown]
	ds_read2_b32 v[27:28], v27 offset0:46 offset1:90
	ds_read_b32 v55, v55
	ds_read_b32 v56, v56
	v_lshlrev_b32_e32 v61, 1, v12
	v_lshlrev_b32_e32 v62, 1, v26
	;; [unrolled: 1-line block ×9, first 2 shown]
	v_lshrrev_b32_e32 v58, 16, v20
	v_lshl_add_u32 v50, v14, 2, 0
	s_and_saveexec_b32 s1, s0
	s_cbranch_execz .LBB0_17
; %bb.16:
	ds_read_b32 v20, v49 offset:3608
	ds_read_b32 v37, v50
	s_waitcnt lgkmcnt(1)
	v_lshrrev_b32_e32 v58, 16, v20
.LBB0_17:
	s_or_b32 exec_lo, exec_lo, s1
	v_and_b32_e32 v57, 1, v8
	v_lshlrev_b32_e32 v71, 1, v8
	v_sub_nc_u32_e32 v43, 0, v30
	v_sub_nc_u32_e32 v30, 0, v60
	;; [unrolled: 1-line block ×3, first 2 shown]
	v_lshlrev_b32_e32 v39, 2, v57
	v_and_or_b32 v60, 0x7c, v71, v57
	v_and_or_b32 v61, 0xfc, v61, v57
	;; [unrolled: 1-line block ×4, first 2 shown]
	global_load_dword v70, v39, s[8:9]
	v_sub_nc_u32_e32 v39, 0, v38
	v_sub_nc_u32_e32 v38, 0, v42
	;; [unrolled: 1-line block ×4, first 2 shown]
	s_waitcnt lgkmcnt(0)
	v_lshrrev_b32_e32 v59, 16, v37
	v_and_or_b32 v64, 0x1fc, v64, v57
	v_sub_nc_u32_e32 v41, 0, v41
	v_and_or_b32 v65, 0x3fc, v65, v57
	v_and_or_b32 v66, 0x2fc, v66, v57
	;; [unrolled: 1-line block ×5, first 2 shown]
	v_lshl_add_u32 v60, v60, 2, 0
	v_lshl_add_u32 v61, v61, 2, 0
	;; [unrolled: 1-line block ×10, first 2 shown]
	s_waitcnt vmcnt(0)
	s_barrier
	buffer_gl0_inv
	v_mul_f16_sdwa v73, v20, v70 dst_sel:DWORD dst_unused:UNUSED_PAD src0_sel:DWORD src1_sel:WORD_1
	v_pk_mul_f16 v74, v70, v0 op_sel:[0,1]
	v_pk_mul_f16 v71, v70, v28 op_sel:[0,1]
	;; [unrolled: 1-line block ×3, first 2 shown]
	v_mul_f16_sdwa v72, v58, v70 dst_sel:DWORD dst_unused:UNUSED_PAD src0_sel:DWORD src1_sel:WORD_1
	v_pk_mul_f16 v76, v70, v4 op_sel:[0,1]
	v_pk_mul_f16 v77, v70, v5 op_sel:[0,1]
	;; [unrolled: 1-line block ×7, first 2 shown]
	v_fmac_f16_e32 v73, v58, v70
	v_pk_fma_f16 v58, v70, v0, v74 op_sel:[0,0,1] op_sel_hi:[1,1,0] neg_lo:[0,0,1] neg_hi:[0,0,1]
	v_pk_fma_f16 v0, v70, v0, v74 op_sel:[0,0,1] op_sel_hi:[1,0,0]
	v_pk_fma_f16 v83, v70, v28, v71 op_sel:[0,0,1] op_sel_hi:[1,1,0] neg_lo:[0,0,1] neg_hi:[0,0,1]
	v_pk_fma_f16 v28, v70, v28, v71 op_sel:[0,0,1] op_sel_hi:[1,0,0]
	;; [unrolled: 2-line block ×3, first 2 shown]
	v_fma_f16 v20, v20, v70, -v72
	v_pk_fma_f16 v72, v70, v4, v76 op_sel:[0,0,1] op_sel_hi:[1,1,0] neg_lo:[0,0,1] neg_hi:[0,0,1]
	v_pk_fma_f16 v4, v70, v4, v76 op_sel:[0,0,1] op_sel_hi:[1,0,0]
	v_pk_fma_f16 v74, v70, v5, v77 op_sel:[0,0,1] op_sel_hi:[1,1,0] neg_lo:[0,0,1] neg_hi:[0,0,1]
	v_pk_fma_f16 v5, v70, v5, v77 op_sel:[0,0,1] op_sel_hi:[1,0,0]
	;; [unrolled: 2-line block ×7, first 2 shown]
	v_bfi_b32 v0, 0xffff, v58, v0
	v_bfi_b32 v1, 0xffff, v71, v1
	;; [unrolled: 1-line block ×10, first 2 shown]
	v_pk_add_f16 v0, v45, v0 neg_lo:[0,1] neg_hi:[0,1]
	v_pk_add_f16 v1, v46, v1 neg_lo:[0,1] neg_hi:[0,1]
	;; [unrolled: 1-line block ×5, first 2 shown]
	v_sub_f16_e32 v28, v37, v20
	v_sub_f16_e32 v20, v59, v73
	v_pk_add_f16 v58, v56, v70 neg_lo:[0,1] neg_hi:[0,1]
	v_pk_add_f16 v3, v52, v3 neg_lo:[0,1] neg_hi:[0,1]
	;; [unrolled: 1-line block ×5, first 2 shown]
	v_pk_fma_f16 v45, v45, 2.0, v0 op_sel_hi:[1,0,1] neg_lo:[0,0,1] neg_hi:[0,0,1]
	v_pk_fma_f16 v46, v46, 2.0, v1 op_sel_hi:[1,0,1] neg_lo:[0,0,1] neg_hi:[0,0,1]
	v_pk_fma_f16 v47, v47, 2.0, v4 op_sel_hi:[1,0,1] neg_lo:[0,0,1] neg_hi:[0,0,1]
	v_pk_fma_f16 v48, v48, 2.0, v5 op_sel_hi:[1,0,1] neg_lo:[0,0,1] neg_hi:[0,0,1]
	v_pk_fma_f16 v51, v51, 2.0, v2 op_sel_hi:[1,0,1] neg_lo:[0,0,1] neg_hi:[0,0,1]
	v_pk_fma_f16 v56, v56, 2.0, v58 op_sel_hi:[1,0,1] neg_lo:[0,0,1] neg_hi:[0,0,1]
	v_pk_fma_f16 v52, v52, 2.0, v3 op_sel_hi:[1,0,1] neg_lo:[0,0,1] neg_hi:[0,0,1]
	v_pk_fma_f16 v53, v53, 2.0, v6 op_sel_hi:[1,0,1] neg_lo:[0,0,1] neg_hi:[0,0,1]
	v_pk_fma_f16 v54, v54, 2.0, v7 op_sel_hi:[1,0,1] neg_lo:[0,0,1] neg_hi:[0,0,1]
	v_pk_fma_f16 v55, v55, 2.0, v27 op_sel_hi:[1,0,1] neg_lo:[0,0,1] neg_hi:[0,0,1]
	ds_write2_b32 v60, v45, v0 offset1:2
	ds_write2_b32 v61, v46, v1 offset1:2
	;; [unrolled: 1-line block ×10, first 2 shown]
	s_and_saveexec_b32 s1, s0
	s_cbranch_execz .LBB0_19
; %bb.18:
	v_lshlrev_b32_e32 v0, 1, v14
	v_fma_f16 v1, v37, 2.0, -v28
	v_fma_f16 v2, v59, 2.0, -v20
	v_and_or_b32 v0, 0x3fc, v0, v57
	v_pack_b32_f16 v1, v1, v2
	v_perm_b32 v2, v20, v28, 0x5040100
	v_lshl_add_u32 v0, v0, 2, 0
	ds_write2_b32 v0, v1, v2 offset1:2
.LBB0_19:
	s_or_b32 exec_lo, exec_lo, s1
	v_and_b32_e32 v4, 3, v8
	s_waitcnt lgkmcnt(0)
	s_barrier
	buffer_gl0_inv
	v_add_nc_u32_e32 v58, 0x800, v49
	v_lshlrev_b32_e32 v0, 3, v4
	v_add_nc_u32_e32 v59, 0x400, v49
	v_add_nc_u32_e32 v2, 0xc00, v49
	ds_read_b32 v3, v49
	v_add_nc_u32_e32 v15, v15, v44
	global_load_dwordx2 v[0:1], v0, s[8:9] offset:8
	v_add_nc_u32_e32 v56, v31, v43
	v_add_nc_u32_e32 v55, v32, v39
	;; [unrolled: 1-line block ×6, first 2 shown]
	ds_read2_b32 v[32:33], v58 offset0:104 offset1:148
	ds_read2_b32 v[34:35], v59 offset0:96 offset1:140
	;; [unrolled: 1-line block ×5, first 2 shown]
	ds_read_b32 v60, v55
	ds_read_b32 v61, v54
	;; [unrolled: 1-line block ×4, first 2 shown]
	ds_read2_b32 v[42:43], v58 offset0:16 offset1:60
	ds_read_b32 v64, v51
	ds_read_b32 v65, v56
	;; [unrolled: 1-line block ×3, first 2 shown]
	ds_read_b32 v67, v49 offset:3520
	v_lshrrev_b32_e32 v6, 2, v8
	v_lshrrev_b32_e32 v7, 2, v12
	v_and_b32_e32 v47, 0xff, v8
	v_and_b32_e32 v48, 0xff, v12
	v_lshrrev_b32_e32 v27, 2, v26
	v_lshrrev_b32_e32 v31, 2, v25
	;; [unrolled: 1-line block ×5, first 2 shown]
	v_and_b32_e32 v57, 0xff, v26
	v_mul_u32_u24_e32 v6, 12, v6
	v_mul_lo_u32 v68, v7, 12
	v_mul_lo_u16 v7, 0xab, v47
	v_mul_lo_u16 v47, 0xab, v48
	s_waitcnt lgkmcnt(13)
	v_lshrrev_b32_e32 v81, 16, v32
	v_mul_lo_u32 v27, v27, 12
	v_mul_lo_u32 v69, v31, 12
	;; [unrolled: 1-line block ×3, first 2 shown]
	s_waitcnt lgkmcnt(1)
	v_lshrrev_b32_e32 v79, 16, v66
	v_mul_lo_u32 v45, v45, 12
	v_mul_lo_u32 v46, v46, 12
	v_lshrrev_b32_e32 v82, 16, v34
	v_lshrrev_b32_e32 v83, 16, v33
	;; [unrolled: 1-line block ×4, first 2 shown]
	v_mul_lo_u16 v48, 0xab, v57
	v_or_b32_e32 v57, v6, v4
	v_lshrrev_b16 v31, 11, v7
	v_lshrrev_b16 v7, 11, v47
	v_lshrrev_b32_e32 v75, 16, v38
	v_lshrrev_b32_e32 v76, 16, v37
	;; [unrolled: 1-line block ×7, first 2 shown]
	s_waitcnt lgkmcnt(0)
	v_lshrrev_b32_e32 v90, 16, v67
	v_lshrrev_b16 v6, 11, v48
	v_or_b32_e32 v47, v68, v4
	v_or_b32_e32 v27, v27, v4
	;; [unrolled: 1-line block ×6, first 2 shown]
	v_lshl_add_u32 v46, v57, 2, 0
	v_mul_lo_u16 v57, v31, 12
	v_mul_lo_u16 v68, v7, 12
	v_lshl_add_u32 v69, v27, 2, 0
	v_lshl_add_u32 v70, v4, 2, 0
	v_lshrrev_b32_e32 v71, 16, v3
	v_sub_nc_u16 v4, v8, v57
	v_sub_nc_u16 v27, v12, v68
	v_lshrrev_b32_e32 v57, 16, v65
	v_lshrrev_b32_e32 v68, 16, v60
	;; [unrolled: 1-line block ×6, first 2 shown]
	v_lshl_add_u32 v47, v47, 2, 0
	v_mov_b32_e32 v5, 6
	s_waitcnt vmcnt(0)
	s_barrier
	buffer_gl0_inv
	v_lshl_add_u32 v48, v48, 2, 0
	v_lshl_add_u32 v44, v44, 2, 0
	;; [unrolled: 1-line block ×3, first 2 shown]
	v_mul_u32_u24_sdwa v87, v4, v5 dst_sel:DWORD dst_unused:UNUSED_PAD src0_sel:BYTE_0 src1_sel:DWORD
	v_mul_u32_u24_sdwa v91, v27, v5 dst_sel:DWORD dst_unused:UNUSED_PAD src0_sel:BYTE_0 src1_sel:DWORD
	v_cmp_gt_u32_e64 s1, 40, v8
	v_lshlrev_b32_e32 v87, 2, v87
	v_mul_f16_sdwa v92, v0, v79 dst_sel:DWORD dst_unused:UNUSED_PAD src0_sel:WORD_1 src1_sel:DWORD
	v_mul_f16_sdwa v93, v0, v66 dst_sel:DWORD dst_unused:UNUSED_PAD src0_sel:WORD_1 src1_sel:DWORD
	;; [unrolled: 1-line block ×8, first 2 shown]
	v_mul_f16_sdwa v100, v72, v0 dst_sel:DWORD dst_unused:UNUSED_PAD src0_sel:DWORD src1_sel:WORD_1
	v_mul_f16_sdwa v101, v35, v0 dst_sel:DWORD dst_unused:UNUSED_PAD src0_sel:DWORD src1_sel:WORD_1
	;; [unrolled: 1-line block ×20, first 2 shown]
	v_fma_f16 v32, v1, v32, -v94
	v_fma_f16 v66, v0, v66, -v92
	v_fmac_f16_e32 v93, v0, v79
	v_fmac_f16_e32 v95, v1, v81
	v_fma_f16 v33, v1, v33, -v98
	v_fma_f16 v34, v0, v34, -v96
	v_fmac_f16_e32 v97, v0, v82
	v_fmac_f16_e32 v99, v1, v83
	;; [unrolled: 4-line block ×3, first 2 shown]
	v_fma_f16 v37, v37, v1, -v106
	v_fma_f16 v38, v38, v0, -v104
	;; [unrolled: 1-line block ×5, first 2 shown]
	v_fmac_f16_e32 v105, v75, v0
	v_fmac_f16_e32 v107, v76, v1
	;; [unrolled: 1-line block ×5, first 2 shown]
	v_fma_f16 v42, v42, v0, -v114
	v_fmac_f16_e32 v113, v80, v1
	v_fma_f16 v43, v43, v0, -v116
	v_fmac_f16_e32 v117, v89, v0
	;; [unrolled: 2-line block ×3, first 2 shown]
	v_add_f16_e32 v67, v66, v32
	v_add_f16_e32 v75, v93, v95
	;; [unrolled: 1-line block ×7, first 2 shown]
	v_sub_f16_e32 v72, v93, v95
	v_add_f16_e32 v73, v71, v93
	v_sub_f16_e32 v66, v66, v32
	v_add_f16_e32 v76, v65, v34
	;; [unrolled: 2-line block ×3, first 2 shown]
	v_add_f16_e32 v81, v60, v35
	v_sub_f16_e32 v83, v101, v103
	v_add_f16_e32 v86, v68, v101
	v_add_f16_e32 v90, v61, v38
	;; [unrolled: 1-line block ×3, first 2 shown]
	v_sub_f16_e32 v93, v105, v107
	v_add_f16_e32 v94, v74, v105
	v_add_f16_e32 v96, v105, v107
	;; [unrolled: 1-line block ×4, first 2 shown]
	v_sub_f16_e32 v100, v111, v112
	v_add_f16_e32 v101, v84, v111
	v_add_f16_e32 v102, v111, v112
	v_add_f16_e32 v104, v63, v42
	v_add_f16_e32 v105, v42, v41
	v_add_f16_e32 v108, v85, v115
	v_add_f16_e32 v109, v115, v113
	v_add_f16_e32 v111, v43, v0
	v_add_f16_e32 v116, v117, v119
	v_fmac_f16_e32 v3, -0.5, v67
	v_fmac_f16_e32 v71, -0.5, v75
	v_sub_f16_e32 v34, v34, v33
	v_fmac_f16_e32 v65, -0.5, v77
	v_fmac_f16_e32 v57, -0.5, v80
	v_sub_f16_e32 v35, v35, v36
	v_sub_f16_e32 v106, v115, v113
	v_add_f16_e32 v110, v64, v43
	v_add_f16_e32 v115, v88, v117
	v_fmac_f16_e32 v60, -0.5, v82
	v_fmac_f16_e32 v68, -0.5, v89
	v_sub_f16_e32 v38, v38, v37
	v_sub_f16_e32 v39, v39, v40
	;; [unrolled: 1-line block ×5, first 2 shown]
	v_add_f16_e32 v1, v1, v32
	v_add_f16_e32 v32, v73, v95
	;; [unrolled: 1-line block ×7, first 2 shown]
	v_fmac_f16_e32 v61, -0.5, v92
	v_add_f16_e32 v75, v94, v107
	v_fmac_f16_e32 v74, -0.5, v96
	v_add_f16_e32 v40, v97, v40
	;; [unrolled: 2-line block ×5, first 2 shown]
	v_fmac_f16_e32 v85, -0.5, v109
	v_fmac_f16_e32 v64, -0.5, v111
	;; [unrolled: 1-line block ×3, first 2 shown]
	v_fmamk_f16 v80, v72, 0x3aee, v3
	v_fmac_f16_e32 v3, 0xbaee, v72
	v_fmamk_f16 v72, v66, 0xbaee, v71
	v_fmac_f16_e32 v71, 0x3aee, v66
	;; [unrolled: 2-line block ×4, first 2 shown]
	v_add_f16_e32 v0, v110, v0
	v_add_f16_e32 v79, v115, v119
	v_fmamk_f16 v34, v83, 0x3aee, v60
	v_fmamk_f16 v81, v35, 0xbaee, v68
	v_fmac_f16_e32 v60, 0xbaee, v83
	v_fmac_f16_e32 v68, 0x3aee, v35
	v_fmamk_f16 v35, v93, 0x3aee, v61
	v_fmac_f16_e32 v61, 0xbaee, v93
	v_fmamk_f16 v82, v38, 0xbaee, v74
	;; [unrolled: 2-line block ×8, first 2 shown]
	v_fmac_f16_e32 v88, 0x3aee, v43
	v_pack_b32_f16 v1, v1, v32
	v_pack_b32_f16 v32, v33, v67
	v_pack_b32_f16 v33, v36, v73
	v_pack_b32_f16 v36, v37, v75
	v_pack_b32_f16 v37, v40, v76
	v_pack_b32_f16 v40, v41, v77
	v_pack_b32_f16 v41, v80, v72
	v_pack_b32_f16 v3, v3, v71
	v_pack_b32_f16 v43, v66, v78
	v_pack_b32_f16 v57, v65, v57
	v_pack_b32_f16 v0, v0, v79
	v_pack_b32_f16 v34, v34, v81
	v_pack_b32_f16 v60, v60, v68
	v_pack_b32_f16 v35, v35, v82
	v_pack_b32_f16 v61, v61, v74
	v_pack_b32_f16 v38, v38, v83
	v_pack_b32_f16 v62, v62, v84
	v_pack_b32_f16 v39, v39, v86
	v_pack_b32_f16 v63, v63, v85
	v_pack_b32_f16 v42, v42, v89
	v_pack_b32_f16 v64, v64, v88
	ds_write2_b32 v46, v1, v41 offset1:4
	ds_write_b32 v46, v3 offset:32
	ds_write2_b32 v47, v32, v43 offset1:4
	ds_write_b32 v47, v57 offset:32
	;; [unrolled: 2-line block ×7, first 2 shown]
	v_mul_lo_u16 v0, v6, 12
	v_lshlrev_b32_e32 v3, 2, v91
	s_waitcnt lgkmcnt(0)
	s_barrier
	buffer_gl0_inv
	v_sub_nc_u16 v48, v26, v0
	s_clause 0x2
	global_load_dwordx4 v[32:35], v87, s[8:9] offset:40
	global_load_dwordx2 v[0:1], v87, s[8:9] offset:56
	global_load_dwordx4 v[36:39], v3, s[8:9] offset:40
	v_mov_b32_e32 v62, 2
	v_add_nc_u32_e32 v63, 0x600, v49
	v_mul_u32_u24_sdwa v5, v48, v5 dst_sel:DWORD dst_unused:UNUSED_PAD src0_sel:BYTE_0 src1_sel:DWORD
	v_add_nc_u32_e32 v60, 0x200, v49
	v_add_nc_u32_e32 v57, v29, v30
	v_lshlrev_b32_sdwa v70, v62, v4 dst_sel:DWORD dst_unused:UNUSED_PAD src0_sel:DWORD src1_sel:BYTE_0
	v_lshlrev_b32_sdwa v27, v62, v27 dst_sel:DWORD dst_unused:UNUSED_PAD src0_sel:DWORD src1_sel:BYTE_0
	v_lshlrev_b32_e32 v5, 2, v5
	s_clause 0x2
	global_load_dwordx2 v[44:45], v3, s[8:9] offset:56
	global_load_dwordx4 v[40:43], v5, s[8:9] offset:40
	global_load_dwordx2 v[46:47], v5, s[8:9] offset:56
	v_mov_b32_e32 v3, 0x150
	v_add_nc_u32_e32 v5, 0xa00, v49
	v_lshlrev_b32_sdwa v48, v62, v48 dst_sel:DWORD dst_unused:UNUSED_PAD src0_sel:DWORD src1_sel:BYTE_0
	v_mul_u32_u24_sdwa v31, v31, v3 dst_sel:DWORD dst_unused:UNUSED_PAD src0_sel:WORD_0 src1_sel:DWORD
	v_mul_u32_u24_sdwa v7, v7, v3 dst_sel:DWORD dst_unused:UNUSED_PAD src0_sel:WORD_0 src1_sel:DWORD
	;; [unrolled: 1-line block ×3, first 2 shown]
	ds_read2_b32 v[3:4], v58 offset0:148 offset1:192
	ds_read2_b32 v[5:6], v5 offset0:108 offset1:152
	ds_read2_b32 v[29:30], v49 offset1:176
	ds_read2_b32 v[60:61], v60 offset0:92 offset1:180
	ds_read2_b32 v[64:65], v59 offset0:96 offset1:184
	;; [unrolled: 1-line block ×4, first 2 shown]
	v_add3_u32 v73, 0, v31, v70
	v_add3_u32 v7, 0, v7, v27
	ds_read2_b32 v[70:71], v63 offset0:100 offset1:144
	ds_read_b32 v27, v54
	v_add3_u32 v48, 0, v72, v48
	ds_read_b32 v31, v51
	ds_read_b32 v62, v57
	;; [unrolled: 1-line block ×4, first 2 shown]
	s_waitcnt vmcnt(0) lgkmcnt(0)
	s_barrier
	buffer_gl0_inv
	v_lshrrev_b32_e32 v75, 16, v3
	v_lshrrev_b32_e32 v76, 16, v6
	;; [unrolled: 1-line block ×18, first 2 shown]
	v_mul_f16_sdwa v93, v32, v86 dst_sel:DWORD dst_unused:UNUSED_PAD src0_sel:WORD_1 src1_sel:DWORD
	v_mul_f16_sdwa v94, v32, v27 dst_sel:DWORD dst_unused:UNUSED_PAD src0_sel:WORD_1 src1_sel:DWORD
	;; [unrolled: 1-line block ×4, first 2 shown]
	v_mul_f16_sdwa v101, v75, v0 dst_sel:DWORD dst_unused:UNUSED_PAD src0_sel:DWORD src1_sel:WORD_1
	v_mul_f16_sdwa v110, v3, v0 dst_sel:DWORD dst_unused:UNUSED_PAD src0_sel:DWORD src1_sel:WORD_1
	;; [unrolled: 1-line block ×4, first 2 shown]
	v_mul_f16_sdwa v97, v34, v91 dst_sel:DWORD dst_unused:UNUSED_PAD src0_sel:WORD_1 src1_sel:DWORD
	v_mul_f16_sdwa v98, v34, v62 dst_sel:DWORD dst_unused:UNUSED_PAD src0_sel:WORD_1 src1_sel:DWORD
	;; [unrolled: 1-line block ×4, first 2 shown]
	v_mul_f16_sdwa v102, v30, v36 dst_sel:DWORD dst_unused:UNUSED_PAD src0_sel:DWORD src1_sel:WORD_1
	v_mul_f16_sdwa v103, v77, v36 dst_sel:DWORD dst_unused:UNUSED_PAD src0_sel:DWORD src1_sel:WORD_1
	;; [unrolled: 1-line block ×24, first 2 shown]
	v_fma_f16 v27, v32, v27, -v93
	v_fmac_f16_e32 v94, v32, v86
	v_fma_f16 v31, v33, v31, -v95
	v_fmac_f16_e32 v96, v33, v90
	v_fmac_f16_e32 v110, v75, v0
	;; [unrolled: 1-line block ×3, first 2 shown]
	v_fma_f16 v0, v3, v0, -v101
	v_fma_f16 v1, v6, v1, -v111
	;; [unrolled: 1-line block ×3, first 2 shown]
	v_fmac_f16_e32 v98, v34, v91
	v_fmac_f16_e32 v99, v35, v92
	v_fma_f16 v33, v35, v71, -v100
	v_fmac_f16_e32 v102, v77, v36
	v_fmac_f16_e32 v104, v78, v37
	v_fmac_f16_e32 v106, v79, v38
	v_fmac_f16_e32 v107, v80, v39
	v_fma_f16 v30, v30, v36, -v103
	v_fma_f16 v34, v61, v37, -v105
	;; [unrolled: 1-line block ×5, first 2 shown]
	v_fmac_f16_e32 v114, v81, v44
	v_fmac_f16_e32 v116, v82, v45
	v_fma_f16 v4, v68, v45, -v115
	v_fma_f16 v6, v60, v40, -v117
	;; [unrolled: 1-line block ×3, first 2 shown]
	v_fmac_f16_e32 v118, v83, v40
	v_fmac_f16_e32 v120, v84, v41
	v_fma_f16 v5, v5, v46, -v125
	v_fmac_f16_e32 v126, v88, v46
	v_fma_f16 v40, v69, v47, -v127
	;; [unrolled: 2-line block ×4, first 2 shown]
	v_fmac_f16_e32 v124, v87, v43
	v_add_f16_e32 v41, v27, v1
	v_add_f16_e32 v42, v94, v112
	;; [unrolled: 1-line block ×4, first 2 shown]
	v_sub_f16_e32 v1, v27, v1
	v_sub_f16_e32 v27, v94, v112
	;; [unrolled: 1-line block ×4, first 2 shown]
	v_add_f16_e32 v45, v32, v33
	v_add_f16_e32 v46, v98, v99
	v_sub_f16_e32 v32, v33, v32
	v_sub_f16_e32 v33, v99, v98
	v_add_f16_e32 v47, v30, v4
	v_add_f16_e32 v60, v102, v116
	v_sub_f16_e32 v4, v30, v4
	v_sub_f16_e32 v30, v102, v116
	;; [unrolled: 4-line block ×4, first 2 shown]
	v_add_f16_e32 v66, v6, v40
	v_add_f16_e32 v67, v118, v128
	v_add_f16_e32 v68, v37, v5
	v_add_f16_e32 v69, v120, v126
	v_add_f16_e32 v75, v43, v41
	v_add_f16_e32 v76, v44, v42
	v_sub_f16_e32 v6, v6, v40
	v_sub_f16_e32 v40, v118, v128
	;; [unrolled: 1-line block ×4, first 2 shown]
	v_add_f16_e32 v70, v38, v39
	v_add_f16_e32 v71, v122, v124
	v_sub_f16_e32 v38, v39, v38
	v_sub_f16_e32 v39, v124, v122
	;; [unrolled: 1-line block ×8, first 2 shown]
	v_add_f16_e32 v79, v32, v0
	v_add_f16_e32 v80, v33, v31
	v_sub_f16_e32 v81, v32, v0
	v_sub_f16_e32 v82, v33, v31
	;; [unrolled: 1-line block ×4, first 2 shown]
	v_add_f16_e32 v83, v61, v47
	v_add_f16_e32 v84, v62, v60
	v_sub_f16_e32 v85, v61, v47
	v_sub_f16_e32 v86, v62, v60
	;; [unrolled: 1-line block ×5, first 2 shown]
	v_add_f16_e32 v87, v35, v3
	v_add_f16_e32 v88, v36, v34
	v_sub_f16_e32 v89, v35, v3
	v_sub_f16_e32 v90, v36, v34
	;; [unrolled: 1-line block ×4, first 2 shown]
	v_add_f16_e32 v91, v68, v66
	v_add_f16_e32 v92, v69, v67
	;; [unrolled: 1-line block ×4, first 2 shown]
	v_sub_f16_e32 v32, v1, v32
	v_sub_f16_e32 v33, v27, v33
	;; [unrolled: 1-line block ×11, first 2 shown]
	v_add_f16_e32 v95, v38, v5
	v_add_f16_e32 v96, v39, v37
	v_sub_f16_e32 v97, v38, v5
	v_sub_f16_e32 v98, v39, v37
	;; [unrolled: 1-line block ×4, first 2 shown]
	v_add_f16_e32 v1, v79, v1
	v_add_f16_e32 v27, v80, v27
	v_mul_f16_e32 v41, 0x3a52, v41
	v_mul_f16_e32 v42, 0x3a52, v42
	v_add_f16_e32 v64, v64, v83
	v_mul_f16_e32 v75, 0x2b26, v43
	v_add_f16_e32 v65, v65, v84
	v_mul_f16_e32 v76, 0x2b26, v44
	v_mul_f16_e32 v79, 0xb846, v81
	;; [unrolled: 1-line block ×3, first 2 shown]
	v_add_f16_e32 v4, v87, v4
	v_mul_f16_e32 v81, 0x3b00, v0
	v_add_f16_e32 v30, v88, v30
	v_mul_f16_e32 v82, 0x3b00, v31
	v_mul_f16_e32 v60, 0x3a52, v60
	v_add_f16_e32 v70, v70, v91
	v_mul_f16_e32 v83, 0x2b26, v61
	v_add_f16_e32 v71, v71, v92
	v_mul_f16_e32 v84, 0x2b26, v62
	v_mul_f16_e32 v87, 0xb846, v89
	;; [unrolled: 1-line block ×5, first 2 shown]
	v_add_f16_e32 v99, v45, v29
	v_add_f16_sdwa v100, v46, v29 dst_sel:DWORD dst_unused:UNUSED_PAD src0_sel:DWORD src1_sel:WORD_1
	v_sub_f16_e32 v38, v6, v38
	v_sub_f16_e32 v39, v40, v39
	v_mul_f16_e32 v47, 0x3a52, v47
	v_add_f16_e32 v6, v95, v6
	v_add_f16_e32 v40, v96, v40
	v_mul_f16_e32 v66, 0x3a52, v66
	v_mul_f16_e32 v67, 0x3a52, v67
	;; [unrolled: 1-line block ×7, first 2 shown]
	v_fmamk_f16 v43, v43, 0x2b26, v41
	v_fma_f16 v75, v77, 0x39e0, -v75
	v_fma_f16 v41, v77, 0xb9e0, -v41
	v_fmamk_f16 v44, v44, 0x2b26, v42
	v_fma_f16 v76, v78, 0x39e0, -v76
	v_fma_f16 v42, v78, 0xb9e0, -v42
	;; [unrolled: 1-line block ×3, first 2 shown]
	v_fmamk_f16 v77, v32, 0x3574, v79
	v_fma_f16 v32, v32, 0xb574, -v81
	v_fma_f16 v31, v31, 0x3b00, -v80
	v_fmamk_f16 v78, v33, 0x3574, v80
	v_fma_f16 v33, v33, 0xb574, -v82
	v_fma_f16 v79, v85, 0x39e0, -v83
	v_add_f16_e32 v80, v64, v72
	v_add_f16_sdwa v72, v65, v72 dst_sel:DWORD dst_unused:UNUSED_PAD src0_sel:DWORD src1_sel:WORD_1
	v_fmamk_f16 v81, v62, 0x2b26, v60
	v_fma_f16 v82, v86, 0x39e0, -v84
	v_fmamk_f16 v83, v35, 0x3574, v87
	v_fma_f16 v3, v3, 0x3b00, -v87
	;; [unrolled: 2-line block ×3, first 2 shown]
	v_fma_f16 v35, v35, 0xb574, -v89
	v_fma_f16 v36, v36, 0xb574, -v90
	v_add_f16_e32 v29, v70, v74
	v_add_f16_sdwa v62, v71, v74 dst_sel:DWORD dst_unused:UNUSED_PAD src0_sel:DWORD src1_sel:WORD_1
	v_mul_f16_e32 v92, 0x2b26, v69
	v_fmamk_f16 v45, v45, 0xbcab, v99
	v_fmamk_f16 v46, v46, 0xbcab, v100
	;; [unrolled: 1-line block ×3, first 2 shown]
	v_fma_f16 v47, v85, 0xb9e0, -v47
	v_fma_f16 v60, v86, 0xb9e0, -v60
	v_fmamk_f16 v68, v68, 0x2b26, v66
	v_fmamk_f16 v69, v69, 0x2b26, v67
	v_fma_f16 v74, v93, 0x39e0, -v91
	v_fma_f16 v66, v93, 0xb9e0, -v66
	;; [unrolled: 1-line block ×3, first 2 shown]
	v_fmamk_f16 v86, v38, 0x3574, v95
	v_fmamk_f16 v87, v39, 0x3574, v96
	v_fma_f16 v38, v38, 0xb574, -v97
	v_fma_f16 v39, v39, 0xb574, -v98
	v_fmac_f16_e32 v77, 0x370e, v1
	v_fmac_f16_e32 v78, 0x370e, v27
	;; [unrolled: 1-line block ×6, first 2 shown]
	v_fmamk_f16 v1, v64, 0xbcab, v80
	v_fmamk_f16 v27, v65, 0xbcab, v72
	v_fmac_f16_e32 v83, 0x370e, v4
	v_fmac_f16_e32 v84, 0x370e, v30
	;; [unrolled: 1-line block ×6, first 2 shown]
	v_fmamk_f16 v4, v70, 0xbcab, v29
	v_fmamk_f16 v30, v71, 0xbcab, v62
	v_fma_f16 v85, v94, 0x39e0, -v92
	v_fma_f16 v5, v5, 0x3b00, -v95
	;; [unrolled: 1-line block ×3, first 2 shown]
	v_add_f16_e32 v43, v43, v45
	v_add_f16_e32 v44, v44, v46
	;; [unrolled: 1-line block ×6, first 2 shown]
	v_fmac_f16_e32 v86, 0x370e, v6
	v_fmac_f16_e32 v87, 0x370e, v40
	;; [unrolled: 1-line block ×4, first 2 shown]
	v_add_f16_e32 v45, v61, v1
	v_add_f16_e32 v46, v81, v27
	;; [unrolled: 1-line block ×11, first 2 shown]
	v_fmac_f16_e32 v5, 0x370e, v6
	v_fmac_f16_e32 v37, 0x370e, v40
	v_add_f16_e32 v74, v85, v30
	v_add_f16_e32 v76, v78, v43
	v_sub_f16_e32 v79, v44, v77
	v_pack_b32_f16 v40, v80, v72
	v_add_f16_e32 v80, v33, v41
	v_sub_f16_e32 v81, v42, v32
	v_sub_f16_e32 v82, v64, v31
	v_add_f16_e32 v85, v0, v65
	v_add_f16_e32 v88, v31, v64
	v_sub_f16_e32 v0, v65, v0
	v_sub_f16_e32 v41, v41, v33
	v_add_f16_e32 v42, v32, v42
	v_sub_f16_e32 v43, v43, v78
	v_add_f16_e32 v44, v77, v44
	v_add_f16_e32 v77, v84, v45
	v_sub_f16_e32 v78, v46, v83
	v_add_f16_e32 v89, v36, v1
	v_sub_f16_e32 v90, v27, v35
	v_sub_f16_e32 v91, v61, v34
	v_add_f16_e32 v92, v3, v70
	v_add_f16_e32 v60, v34, v61
	v_sub_f16_e32 v61, v70, v3
	v_sub_f16_e32 v31, v1, v36
	v_add_f16_e32 v68, v35, v27
	v_sub_f16_e32 v32, v45, v84
	v_add_f16_e32 v67, v83, v46
	v_add_f16_e32 v30, v87, v47
	v_sub_f16_e32 v65, v71, v86
	v_add_f16_e32 v33, v39, v4
	v_sub_f16_e32 v64, v75, v38
	v_pack_b32_f16 v6, v99, v100
	v_sub_f16_e32 v34, v69, v37
	v_add_f16_e32 v66, v5, v74
	v_add_f16_e32 v35, v37, v69
	v_sub_f16_e32 v69, v74, v5
	v_sub_f16_e32 v36, v4, v39
	v_add_f16_e32 v70, v38, v75
	v_sub_f16_e32 v27, v47, v87
	v_add_f16_e32 v71, v86, v71
	v_pack_b32_f16 v1, v76, v79
	v_pack_b32_f16 v3, v80, v81
	;; [unrolled: 1-line block ×19, first 2 shown]
	ds_write2_b32 v73, v6, v1 offset1:12
	ds_write2_b32 v73, v3, v4 offset0:24 offset1:36
	ds_write2_b32 v73, v0, v5 offset0:48 offset1:60
	ds_write_b32 v73, v37 offset:288
	ds_write2_b32 v7, v40, v38 offset1:12
	ds_write2_b32 v7, v39, v41 offset0:24 offset1:36
	ds_write2_b32 v7, v42, v43 offset0:48 offset1:60
	ds_write_b32 v7, v44 offset:288
	;; [unrolled: 4-line block ×3, first 2 shown]
	s_waitcnt lgkmcnt(0)
	s_barrier
	buffer_gl0_inv
	ds_read2_b32 v[37:38], v49 offset1:84
	ds_read2_b32 v[45:46], v49 offset0:168 offset1:252
	ds_read2_b32 v[43:44], v59 offset0:80 offset1:164
	;; [unrolled: 1-line block ×4, first 2 shown]
	ds_read_b32 v72, v49 offset:3360
	s_and_saveexec_b32 s4, s1
	s_cbranch_execz .LBB0_21
; %bb.20:
	ds_read_b32 v60, v56
	ds_read2_b32 v[31:32], v49 offset0:128 offset1:212
	ds_read2_b32 v[29:30], v59 offset0:40 offset1:124
	;; [unrolled: 1-line block ×5, first 2 shown]
	s_waitcnt lgkmcnt(5)
	v_lshrrev_b32_e32 v61, 16, v60
	s_waitcnt lgkmcnt(4)
	v_lshrrev_b32_e32 v68, 16, v31
	v_lshrrev_b32_e32 v67, 16, v32
	s_waitcnt lgkmcnt(3)
	v_lshrrev_b32_e32 v62, 16, v29
	;; [unrolled: 3-line block ×5, first 2 shown]
	v_lshrrev_b32_e32 v20, 16, v28
.LBB0_21:
	s_or_b32 exec_lo, exec_lo, s4
	v_mul_u32_u24_e32 v0, 10, v8
	s_waitcnt lgkmcnt(5)
	v_lshrrev_b32_e32 v82, 16, v38
	s_waitcnt lgkmcnt(1)
	v_lshrrev_b32_e32 v73, 16, v40
	v_lshrrev_b32_e32 v75, 16, v39
	;; [unrolled: 1-line block ×3, first 2 shown]
	v_lshlrev_b32_e32 v47, 2, v0
	v_lshrrev_b32_e32 v77, 16, v41
	v_lshrrev_b32_e32 v78, 16, v44
	v_lshrrev_b32_e32 v81, 16, v45
	v_lshrrev_b32_e32 v79, 16, v43
	s_clause 0x2
	global_load_dwordx4 v[0:3], v47, s[8:9] offset:328
	global_load_dwordx4 v[4:7], v47, s[8:9] offset:344
	global_load_dwordx2 v[47:48], v47, s[8:9] offset:360
	v_lshrrev_b32_e32 v80, 16, v46
	s_waitcnt lgkmcnt(0)
	v_lshrrev_b32_e32 v74, 16, v72
	s_waitcnt vmcnt(0)
	s_barrier
	buffer_gl0_inv
	v_mul_f16_sdwa v83, v0, v82 dst_sel:DWORD dst_unused:UNUSED_PAD src0_sel:WORD_1 src1_sel:DWORD
	v_mul_f16_sdwa v84, v0, v38 dst_sel:DWORD dst_unused:UNUSED_PAD src0_sel:WORD_1 src1_sel:DWORD
	;; [unrolled: 1-line block ×16, first 2 shown]
	v_mul_f16_sdwa v99, v73, v47 dst_sel:DWORD dst_unused:UNUSED_PAD src0_sel:DWORD src1_sel:WORD_1
	v_fma_f16 v38, v0, v38, -v83
	v_fmac_f16_e32 v84, v0, v82
	v_mul_f16_sdwa v101, v74, v48 dst_sel:DWORD dst_unused:UNUSED_PAD src0_sel:DWORD src1_sel:WORD_1
	v_mul_f16_sdwa v102, v72, v48 dst_sel:DWORD dst_unused:UNUSED_PAD src0_sel:DWORD src1_sel:WORD_1
	v_mul_f16_sdwa v100, v40, v47 dst_sel:DWORD dst_unused:UNUSED_PAD src0_sel:DWORD src1_sel:WORD_1
	v_fma_f16 v0, v1, v45, -v85
	v_fmac_f16_e32 v86, v1, v81
	v_fma_f16 v1, v2, v46, -v87
	v_fmac_f16_e32 v88, v2, v80
	;; [unrolled: 2-line block ×7, first 2 shown]
	v_fma_f16 v7, v40, v47, -v99
	v_add_f16_e32 v40, v38, v37
	v_add_f16_sdwa v41, v84, v37 dst_sel:DWORD dst_unused:UNUSED_PAD src0_sel:DWORD src1_sel:WORD_1
	v_fma_f16 v39, v72, v48, -v101
	v_fmac_f16_e32 v102, v74, v48
	v_fmac_f16_e32 v100, v73, v47
	v_add_f16_e32 v45, v0, v7
	v_sub_f16_e32 v47, v0, v7
	v_add_f16_e32 v0, v40, v0
	v_add_f16_e32 v40, v41, v86
	;; [unrolled: 1-line block ×3, first 2 shown]
	v_sub_f16_e32 v38, v38, v39
	v_sub_f16_e32 v44, v84, v102
	v_add_f16_e32 v72, v1, v6
	v_sub_f16_e32 v74, v1, v6
	v_add_f16_e32 v0, v0, v1
	v_add_f16_e32 v1, v40, v88
	;; [unrolled: 1-line block ×4, first 2 shown]
	v_sub_f16_e32 v48, v86, v100
	v_sub_f16_e32 v75, v88, v98
	;; [unrolled: 1-line block ×6, first 2 shown]
	v_mul_f16_e32 v41, 0xb853, v44
	v_mul_f16_e32 v84, 0xb853, v38
	;; [unrolled: 1-line block ×10, first 2 shown]
	v_add_f16_e32 v0, v0, v2
	v_add_f16_e32 v1, v1, v90
	;; [unrolled: 1-line block ×7, first 2 shown]
	v_mul_f16_e32 v95, 0xbb47, v48
	v_mul_f16_e32 v97, 0xbb47, v47
	;; [unrolled: 1-line block ×40, first 2 shown]
	v_fma_f16 v40, v42, 0x3abb, -v41
	v_fmamk_f16 v88, v43, 0x3abb, v84
	v_fmac_f16_e32 v41, 0x3abb, v42
	v_fma_f16 v84, v43, 0x3abb, -v84
	v_fma_f16 v131, v42, 0x36a6, -v85
	v_fmamk_f16 v132, v43, 0x36a6, v86
	v_fmac_f16_e32 v85, 0x36a6, v42
	v_fma_f16 v86, v43, 0x36a6, -v86
	;; [unrolled: 4-line block ×5, first 2 shown]
	v_add_f16_e32 v0, v0, v3
	v_add_f16_e32 v1, v1, v92
	v_fma_f16 v42, v45, 0x36a6, -v95
	v_fmamk_f16 v43, v46, 0x36a6, v97
	v_fmac_f16_e32 v95, 0x36a6, v45
	v_fma_f16 v97, v46, 0x36a6, -v97
	v_fma_f16 v139, v45, 0xb93d, -v99
	v_fmamk_f16 v140, v46, 0xb93d, v101
	v_fmac_f16_e32 v99, 0xb93d, v45
	v_fma_f16 v101, v46, 0xb93d, -v101
	v_fma_f16 v141, v45, 0xbbad, -v103
	v_fmamk_f16 v142, v46, 0xbbad, v104
	v_fmac_f16_e32 v103, 0xbbad, v45
	v_fma_f16 v104, v46, 0xbbad, -v104
	v_fma_f16 v143, v45, 0xb08e, -v105
	v_fmamk_f16 v144, v46, 0xb08e, v106
	v_fmac_f16_e32 v105, 0xb08e, v45
	v_fma_f16 v106, v46, 0xb08e, -v106
	v_fma_f16 v145, v45, 0x3abb, -v48
	v_fmamk_f16 v146, v46, 0x3abb, v47
	v_fmac_f16_e32 v48, 0x3abb, v45
	v_fma_f16 v45, v46, 0x3abb, -v47
	v_fma_f16 v46, v72, 0xb08e, -v107
	v_fmamk_f16 v47, v73, 0xb08e, v108
	v_fmac_f16_e32 v107, 0xb08e, v72
	v_fma_f16 v108, v73, 0xb08e, -v108
	v_fma_f16 v147, v72, 0xbbad, -v109
	v_fmamk_f16 v148, v73, 0xbbad, v110
	v_fmac_f16_e32 v109, 0xbbad, v72
	v_fma_f16 v110, v73, 0xbbad, -v110
	v_fma_f16 v149, v72, 0x36a6, -v111
	v_fmamk_f16 v150, v73, 0x36a6, v112
	v_fmac_f16_e32 v111, 0x36a6, v72
	v_fma_f16 v112, v73, 0x36a6, -v112
	v_fma_f16 v151, v72, 0x3abb, -v113
	v_fmamk_f16 v152, v73, 0x3abb, v114
	v_fmac_f16_e32 v113, 0x3abb, v72
	v_fma_f16 v114, v73, 0x3abb, -v114
	v_fma_f16 v153, v72, 0xb93d, -v75
	v_fmamk_f16 v154, v73, 0xb93d, v74
	v_fmac_f16_e32 v75, 0xb93d, v72
	v_fma_f16 v72, v73, 0xb93d, -v74
	v_fma_f16 v73, v76, 0xb93d, -v115
	v_fmamk_f16 v74, v77, 0xb93d, v116
	v_fmac_f16_e32 v115, 0xb93d, v76
	v_fma_f16 v116, v77, 0xb93d, -v116
	v_fma_f16 v155, v76, 0xb08e, -v117
	v_fmamk_f16 v156, v77, 0xb08e, v118
	v_fmac_f16_e32 v117, 0xb08e, v76
	v_fma_f16 v118, v77, 0xb08e, -v118
	v_fma_f16 v157, v76, 0x3abb, -v119
	v_fmamk_f16 v158, v77, 0x3abb, v120
	v_fmac_f16_e32 v119, 0x3abb, v76
	v_fma_f16 v120, v77, 0x3abb, -v120
	v_fma_f16 v159, v76, 0xbbad, -v121
	v_fmamk_f16 v160, v77, 0xbbad, v122
	v_fmac_f16_e32 v121, 0xbbad, v76
	v_fma_f16 v122, v77, 0xbbad, -v122
	v_fma_f16 v161, v76, 0x36a6, -v79
	v_fmac_f16_e32 v79, 0x36a6, v76
	v_fmamk_f16 v76, v77, 0x36a6, v78
	v_fma_f16 v77, v77, 0x36a6, -v78
	v_fma_f16 v78, v80, 0xbbad, -v123
	v_fmac_f16_e32 v123, 0xbbad, v80
	v_fma_f16 v162, v80, 0x3abb, -v124
	v_fmac_f16_e32 v124, 0x3abb, v80
	v_fma_f16 v163, v80, 0xb93d, -v125
	v_fmac_f16_e32 v125, 0xb93d, v80
	v_fma_f16 v164, v80, 0x36a6, -v126
	v_fmac_f16_e32 v126, 0x36a6, v80
	v_fma_f16 v165, v80, 0xb08e, -v81
	v_fmac_f16_e32 v81, 0xb08e, v80
	v_fmamk_f16 v80, v83, 0xbbad, v127
	v_fma_f16 v127, v83, 0xbbad, -v127
	v_fmamk_f16 v166, v83, 0x3abb, v128
	v_fma_f16 v128, v83, 0x3abb, -v128
	;; [unrolled: 2-line block ×5, first 2 shown]
	v_add_f16_e32 v40, v40, v37
	v_add_f16_sdwa v83, v88, v37 dst_sel:DWORD dst_unused:UNUSED_PAD src0_sel:DWORD src1_sel:WORD_1
	v_add_f16_e32 v41, v41, v37
	v_add_f16_sdwa v84, v84, v37 dst_sel:DWORD dst_unused:UNUSED_PAD src0_sel:DWORD src1_sel:WORD_1
	v_add_f16_e32 v88, v131, v37
	v_add_f16_sdwa v131, v132, v37 dst_sel:DWORD dst_unused:UNUSED_PAD src0_sel:DWORD src1_sel:WORD_1
	v_add_f16_e32 v85, v85, v37
	v_add_f16_sdwa v86, v86, v37 dst_sel:DWORD dst_unused:UNUSED_PAD src0_sel:DWORD src1_sel:WORD_1
	v_add_f16_e32 v132, v133, v37
	v_add_f16_sdwa v133, v134, v37 dst_sel:DWORD dst_unused:UNUSED_PAD src0_sel:DWORD src1_sel:WORD_1
	v_add_f16_e32 v87, v87, v37
	v_add_f16_sdwa v89, v89, v37 dst_sel:DWORD dst_unused:UNUSED_PAD src0_sel:DWORD src1_sel:WORD_1
	v_add_f16_e32 v134, v135, v37
	v_add_f16_sdwa v135, v136, v37 dst_sel:DWORD dst_unused:UNUSED_PAD src0_sel:DWORD src1_sel:WORD_1
	v_add_f16_e32 v91, v91, v37
	v_add_f16_sdwa v93, v93, v37 dst_sel:DWORD dst_unused:UNUSED_PAD src0_sel:DWORD src1_sel:WORD_1
	v_add_f16_e32 v136, v137, v37
	v_add_f16_sdwa v2, v138, v37 dst_sel:DWORD dst_unused:UNUSED_PAD src0_sel:DWORD src1_sel:WORD_1
	v_add_f16_e32 v44, v44, v37
	v_add_f16_sdwa v37, v38, v37 dst_sel:DWORD dst_unused:UNUSED_PAD src0_sel:DWORD src1_sel:WORD_1
	v_add_f16_e32 v0, v0, v4
	v_add_f16_e32 v1, v1, v94
	;; [unrolled: 1-line block ×90, first 2 shown]
	v_pack_b32_f16 v3, v3, v4
	v_pack_b32_f16 v4, v38, v40
	;; [unrolled: 1-line block ×11, first 2 shown]
	ds_write2_b32 v49, v4, v7 offset0:168 offset1:252
	ds_write2_b32 v59, v38, v2 offset0:80 offset1:164
	;; [unrolled: 1-line block ×4, first 2 shown]
	ds_write2_b32 v49, v0, v3 offset1:84
	ds_write_b32 v49, v5 offset:3360
	s_and_saveexec_b32 s4, s1
	s_cbranch_execz .LBB0_23
; %bb.22:
	v_subrev_nc_u32_e32 v0, 40, v8
	v_mov_b32_e32 v1, 0
	v_add_nc_u32_e32 v39, 0x200, v49
	v_add_nc_u32_e32 v40, 0x400, v49
	;; [unrolled: 1-line block ×3, first 2 shown]
	v_cndmask_b32_e64 v0, v0, v12, s1
	v_add_nc_u32_e32 v42, 0xa00, v49
	v_mul_i32_i24_e32 v0, 10, v0
	v_lshlrev_b64 v[0:1], 2, v[0:1]
	v_add_co_u32 v4, s1, s8, v0
	v_add_co_ci_u32_e64 v5, s1, s9, v1, s1
	s_clause 0x2
	global_load_dwordx2 v[37:38], v[4:5], off offset:360
	global_load_dwordx4 v[0:3], v[4:5], off offset:328
	global_load_dwordx4 v[4:7], v[4:5], off offset:344
	s_waitcnt vmcnt(2)
	v_mul_f16_sdwa v43, v28, v38 dst_sel:DWORD dst_unused:UNUSED_PAD src0_sel:DWORD src1_sel:WORD_1
	s_waitcnt vmcnt(1)
	v_mul_f16_sdwa v44, v31, v0 dst_sel:DWORD dst_unused:UNUSED_PAD src0_sel:DWORD src1_sel:WORD_1
	v_mul_f16_sdwa v45, v68, v0 dst_sel:DWORD dst_unused:UNUSED_PAD src0_sel:DWORD src1_sel:WORD_1
	;; [unrolled: 1-line block ×8, first 2 shown]
	v_fmac_f16_e32 v43, v20, v38
	v_fmac_f16_e32 v44, v68, v0
	v_fma_f16 v0, v31, v0, -v45
	v_fma_f16 v20, v28, v38, -v46
	v_mul_f16_sdwa v47, v27, v37 dst_sel:DWORD dst_unused:UNUSED_PAD src0_sel:DWORD src1_sel:WORD_1
	v_fmac_f16_e32 v48, v67, v1
	v_fma_f16 v1, v32, v1, -v58
	v_fma_f16 v27, v27, v37, -v59
	v_fmac_f16_e32 v72, v62, v2
	v_fma_f16 v2, v29, v2, -v73
	v_add_f16_e32 v28, v44, v43
	v_sub_f16_e32 v29, v0, v20
	v_add_f16_e32 v38, v0, v20
	v_sub_f16_e32 v45, v44, v43
	v_add_f16_e32 v0, v60, v0
	v_add_f16_e32 v44, v61, v44
	s_waitcnt vmcnt(0)
	v_mul_f16_sdwa v63, v36, v7 dst_sel:DWORD dst_unused:UNUSED_PAD src0_sel:DWORD src1_sel:WORD_1
	v_mul_f16_sdwa v75, v35, v6 dst_sel:DWORD dst_unused:UNUSED_PAD src0_sel:DWORD src1_sel:WORD_1
	;; [unrolled: 1-line block ×6, first 2 shown]
	v_sub_f16_e32 v31, v1, v27
	v_add_f16_e32 v46, v1, v27
	v_add_f16_e32 v0, v0, v1
	;; [unrolled: 1-line block ×3, first 2 shown]
	v_mul_f16_sdwa v74, v70, v7 dst_sel:DWORD dst_unused:UNUSED_PAD src0_sel:DWORD src1_sel:WORD_1
	v_mul_f16_sdwa v78, v69, v6 dst_sel:DWORD dst_unused:UNUSED_PAD src0_sel:DWORD src1_sel:WORD_1
	;; [unrolled: 1-line block ×4, first 2 shown]
	v_fmac_f16_e32 v47, v71, v37
	v_fmac_f16_e32 v63, v70, v7
	;; [unrolled: 1-line block ×6, first 2 shown]
	v_fma_f16 v3, v30, v3, -v77
	v_add_f16_e32 v0, v0, v2
	v_add_f16_e32 v1, v1, v72
	v_fma_f16 v7, v36, v7, -v74
	v_fma_f16 v6, v35, v6, -v78
	;; [unrolled: 1-line block ×4, first 2 shown]
	v_add_f16_e32 v30, v48, v47
	v_add_f16_e32 v32, v72, v63
	;; [unrolled: 1-line block ×4, first 2 shown]
	v_sub_f16_e32 v58, v48, v47
	v_sub_f16_e32 v62, v72, v63
	;; [unrolled: 1-line block ×4, first 2 shown]
	v_mul_f16_e32 v68, 0x3abb, v28
	v_mul_f16_e32 v74, 0xb853, v45
	;; [unrolled: 1-line block ×10, first 2 shown]
	v_add_f16_e32 v0, v0, v3
	v_add_f16_e32 v1, v1, v76
	v_sub_f16_e32 v33, v2, v7
	v_sub_f16_e32 v35, v3, v6
	;; [unrolled: 1-line block ×3, first 2 shown]
	v_add_f16_e32 v59, v2, v7
	v_add_f16_e32 v64, v3, v6
	;; [unrolled: 1-line block ×3, first 2 shown]
	v_mul_f16_e32 v69, 0x36a6, v30
	v_mul_f16_e32 v70, 0xb08e, v32
	;; [unrolled: 1-line block ×40, first 2 shown]
	v_fmamk_f16 v44, v29, 0x3853, v68
	v_fmamk_f16 v116, v38, 0x3abb, v74
	;; [unrolled: 1-line block ×10, first 2 shown]
	v_fmac_f16_e32 v28, 0xb482, v29
	v_fma_f16 v45, v38, 0xbbad, -v45
	v_fmac_f16_e32 v103, 0xba0c, v29
	v_fma_f16 v108, v38, 0xb93d, -v108
	;; [unrolled: 2-line block ×5, first 2 shown]
	v_add_f16_e32 v0, v0, v4
	v_add_f16_e32 v1, v1, v80
	v_fmamk_f16 v48, v31, 0x3b47, v69
	v_fmamk_f16 v113, v33, 0x3beb, v70
	;; [unrolled: 1-line block ×40, first 2 shown]
	v_fmac_f16_e32 v30, 0x3853, v31
	v_fmac_f16_e32 v32, 0xba0c, v33
	v_fmac_f16_e32 v34, 0x3b47, v35
	v_fmac_f16_e32 v36, 0xbbeb, v37
	v_fma_f16 v58, v46, 0x3abb, -v58
	v_fma_f16 v62, v59, 0xb93d, -v62
	v_fma_f16 v65, v64, 0x36a6, -v65
	v_fma_f16 v67, v66, 0xb08e, -v67
	v_fmac_f16_e32 v104, 0x3beb, v31
	v_fmac_f16_e32 v105, 0xb853, v33
	v_fmac_f16_e32 v106, 0xb482, v35
	v_fmac_f16_e32 v107, 0x3b47, v37
	v_fma_f16 v109, v46, 0xb08e, -v109
	v_fma_f16 v110, v59, 0x3abb, -v110
	v_fma_f16 v111, v64, 0xbbad, -v111
	v_fma_f16 v112, v66, 0x36a6, -v112
	;; [unrolled: 8-line block ×5, first 2 shown]
	v_add_f16_e32 v2, v61, v44
	v_add_f16_e32 v38, v60, v116
	;; [unrolled: 1-line block ×110, first 2 shown]
	v_pack_b32_f16 v27, v29, v45
	v_pack_b32_f16 v29, v37, v36
	v_pack_b32_f16 v32, v34, v32
	v_pack_b32_f16 v28, v30, v28
	v_pack_b32_f16 v30, v44, v38
	v_pack_b32_f16 v20, v35, v33
	v_pack_b32_f16 v6, v31, v6
	v_pack_b32_f16 v4, v5, v4
	v_pack_b32_f16 v7, v7, v46
	v_pack_b32_f16 v0, v0, v1
	v_pack_b32_f16 v2, v3, v2
	ds_write2_b32 v39, v27, v29 offset0:84 offset1:168
	ds_write2_b32 v40, v32, v28 offset0:124 offset1:208
	ds_write2_b32 v41, v30, v20 offset0:36 offset1:120
	ds_write2_b32 v42, v6, v4 offset0:76 offset1:160
	ds_write2_b32 v49, v0, v7 offset0:44 offset1:128
	ds_write_b32 v49, v2 offset:3536
.LBB0_23:
	s_or_b32 exec_lo, exec_lo, s4
	s_waitcnt lgkmcnt(0)
	s_barrier
	buffer_gl0_inv
	ds_read_b32 v5, v49
	v_sub_nc_u32_e32 v0, 0, v9
	s_add_u32 s4, s8, 0xe68
	s_addc_u32 s5, s9, 0
	s_mov_b32 s6, exec_lo
                                        ; implicit-def: $vgpr4
                                        ; implicit-def: $vgpr3
                                        ; implicit-def: $vgpr2
	v_cmpx_ne_u32_e32 0, v8
	s_xor_b32 s6, exec_lo, s6
	s_cbranch_execz .LBB0_25
; %bb.24:
	v_mov_b32_e32 v9, 0
	v_lshlrev_b64 v[1:2], 2, v[8:9]
	v_add_co_u32 v1, s1, s4, v1
	v_add_co_ci_u32_e64 v2, s1, s5, v2, s1
	global_load_dword v1, v[1:2], off
	ds_read_b32 v2, v0 offset:3696
	s_waitcnt lgkmcnt(0)
	v_sub_f16_e32 v3, v5, v2
	v_sub_f16_sdwa v6, v5, v2 dst_sel:DWORD dst_unused:UNUSED_PAD src0_sel:WORD_1 src1_sel:WORD_1
	v_add_f16_sdwa v4, v2, v5 dst_sel:DWORD dst_unused:UNUSED_PAD src0_sel:WORD_1 src1_sel:WORD_1
	v_add_f16_e32 v2, v2, v5
	v_mul_f16_e32 v7, 0.5, v3
	v_mul_f16_e32 v5, 0.5, v6
	;; [unrolled: 1-line block ×3, first 2 shown]
	s_waitcnt vmcnt(0)
	v_lshrrev_b32_e32 v3, 16, v1
	v_mul_f16_e32 v6, v3, v7
	v_fma_f16 v9, v4, v3, v5
	v_fma_f16 v5, v4, v3, -v5
	v_fma_f16 v20, 0.5, v2, v6
	v_fma_f16 v6, v2, 0.5, -v6
	v_fma_f16 v2, -v1, v7, v9
	v_fmac_f16_e32 v20, v1, v4
	v_fma_f16 v3, -v1, v4, v6
	v_fma_f16 v4, -v1, v7, v5
                                        ; implicit-def: $vgpr5
	ds_write_b16 v49, v20
.LBB0_25:
	s_or_saveexec_b32 s1, s6
	v_sub_nc_u32_e32 v1, 0, v13
	s_xor_b32 exec_lo, exec_lo, s1
	s_cbranch_execz .LBB0_27
; %bb.26:
	v_mov_b32_e32 v2, 0
	s_waitcnt lgkmcnt(0)
	v_add_f16_sdwa v6, v5, v5 dst_sel:DWORD dst_unused:UNUSED_PAD src0_sel:WORD_1 src1_sel:DWORD
	v_sub_f16_sdwa v3, v5, v5 dst_sel:DWORD dst_unused:UNUSED_PAD src0_sel:DWORD src1_sel:WORD_1
	ds_read_u16 v4, v2 offset:1850
	s_waitcnt lgkmcnt(0)
	v_xor_b32_e32 v5, 0x8000, v4
	v_mov_b32_e32 v4, 0
	ds_write_b16 v49, v6
	ds_write_b16 v2, v5 offset:1850
.LBB0_27:
	s_or_b32 exec_lo, exec_lo, s1
	v_mov_b32_e32 v13, 0
	v_perm_b32 v4, v4, v3, 0x5040100
	ds_write_b16 v49, v2 offset:2
	v_add_nc_u32_e32 v1, v11, v1
	s_waitcnt lgkmcnt(1)
	v_lshlrev_b64 v[5:6], 2, v[12:13]
	v_mov_b32_e32 v27, v13
	ds_write_b32 v0, v4 offset:3696
	v_mov_b32_e32 v20, v13
	v_add_co_u32 v5, s1, s4, v5
	v_add_co_ci_u32_e64 v6, s1, s5, v6, s1
	global_load_dword v7, v[5:6], off
	v_lshlrev_b64 v[5:6], 2, v[26:27]
	v_mov_b32_e32 v26, v13
	v_add_co_u32 v5, s1, s4, v5
	v_add_co_ci_u32_e64 v6, s1, s5, v6, s1
	global_load_dword v9, v[5:6], off
	v_lshlrev_b64 v[5:6], 2, v[25:26]
	;; [unrolled: 5-line block ×4, first 2 shown]
	v_mov_b32_e32 v23, v13
	v_add_co_u32 v5, s1, s4, v5
	v_add_co_ci_u32_e64 v6, s1, s5, v6, s1
	v_lshlrev_b64 v[2:3], 2, v[22:23]
	v_mov_b32_e32 v22, v13
	global_load_dword v6, v[5:6], off
	ds_read_b32 v23, v56
	ds_read_b32 v24, v0 offset:3520
	v_add_co_u32 v2, s1, s4, v2
	v_add_co_ci_u32_e64 v3, s1, s5, v3, s1
	v_lshlrev_b64 v[4:5], 2, v[21:22]
	global_load_dword v26, v[2:3], off
	v_lshlrev_b64 v[2:3], 2, v[19:20]
	v_add_co_u32 v2, s1, s4, v2
	v_add_co_ci_u32_e64 v3, s1, s5, v3, s1
	s_waitcnt lgkmcnt(0)
	v_pk_add_f16 v19, v23, v24 neg_lo:[0,1] neg_hi:[0,1]
	v_pk_add_f16 v20, v23, v24
	v_add_co_u32 v4, s1, s4, v4
	v_add_co_ci_u32_e64 v5, s1, s5, v5, s1
	v_bfi_b32 v21, 0xffff, v19, v20
	v_bfi_b32 v19, 0xffff, v20, v19
	v_pk_mul_f16 v20, v21, 0.5 op_sel_hi:[1,0]
	v_pk_mul_f16 v19, v19, 0.5 op_sel_hi:[1,0]
	s_clause 0x1
	global_load_dword v21, v[2:3], off
	global_load_dword v4, v[4:5], off
	s_waitcnt vmcnt(7)
	v_pk_fma_f16 v2, v7, v20, v19 op_sel:[1,0,0]
	v_pk_mul_f16 v3, v7, v20 op_sel_hi:[0,1]
	v_pk_fma_f16 v5, v7, v20, v19 op_sel:[1,0,0] neg_lo:[1,0,0] neg_hi:[1,0,0]
	v_pk_fma_f16 v7, v7, v20, v19 op_sel:[1,0,0] neg_lo:[0,0,1] neg_hi:[0,0,1]
	v_pk_add_f16 v19, v2, v3 op_sel:[0,1] op_sel_hi:[1,0]
	v_pk_add_f16 v2, v2, v3 op_sel:[0,1] op_sel_hi:[1,0] neg_lo:[0,1] neg_hi:[0,1]
	v_pk_add_f16 v5, v5, v3 op_sel:[0,1] op_sel_hi:[1,0] neg_lo:[0,1] neg_hi:[0,1]
	;; [unrolled: 1-line block ×3, first 2 shown]
	v_bfi_b32 v2, 0xffff, v19, v2
	v_bfi_b32 v3, 0xffff, v5, v3
	ds_write_b32 v56, v2
	ds_write_b32 v0, v3 offset:3520
	ds_read_b32 v2, v55
	ds_read_b32 v3, v0 offset:3344
	s_waitcnt lgkmcnt(0)
	v_pk_add_f16 v5, v2, v3 neg_lo:[0,1] neg_hi:[0,1]
	v_pk_add_f16 v2, v2, v3
	v_bfi_b32 v3, 0xffff, v5, v2
	v_bfi_b32 v2, 0xffff, v2, v5
	v_pk_mul_f16 v3, v3, 0.5 op_sel_hi:[1,0]
	v_pk_mul_f16 v2, v2, 0.5 op_sel_hi:[1,0]
	s_waitcnt vmcnt(6)
	v_pk_mul_f16 v7, v9, v3 op_sel_hi:[0,1]
	v_pk_fma_f16 v5, v9, v3, v2 op_sel:[1,0,0]
	v_pk_fma_f16 v19, v9, v3, v2 op_sel:[1,0,0] neg_lo:[1,0,0] neg_hi:[1,0,0]
	v_pk_fma_f16 v2, v9, v3, v2 op_sel:[1,0,0] neg_lo:[0,0,1] neg_hi:[0,0,1]
	v_pk_add_f16 v3, v5, v7 op_sel:[0,1] op_sel_hi:[1,0]
	v_pk_add_f16 v5, v5, v7 op_sel:[0,1] op_sel_hi:[1,0] neg_lo:[0,1] neg_hi:[0,1]
	v_pk_add_f16 v9, v19, v7 op_sel:[0,1] op_sel_hi:[1,0] neg_lo:[0,1] neg_hi:[0,1]
	;; [unrolled: 1-line block ×3, first 2 shown]
	v_mov_b32_e32 v19, v13
	v_bfi_b32 v3, 0xffff, v3, v5
	v_bfi_b32 v2, 0xffff, v9, v2
	ds_write_b32 v55, v3
	ds_write_b32 v0, v2 offset:3344
	ds_read_b32 v2, v54
	ds_read_b32 v3, v0 offset:3168
	s_waitcnt lgkmcnt(0)
	v_pk_add_f16 v5, v2, v3 neg_lo:[0,1] neg_hi:[0,1]
	v_pk_add_f16 v2, v2, v3
	v_bfi_b32 v3, 0xffff, v5, v2
	v_bfi_b32 v2, 0xffff, v2, v5
	v_pk_mul_f16 v3, v3, 0.5 op_sel_hi:[1,0]
	v_pk_mul_f16 v2, v2, 0.5 op_sel_hi:[1,0]
	s_waitcnt vmcnt(5)
	v_pk_mul_f16 v7, v12, v3 op_sel_hi:[0,1]
	v_pk_fma_f16 v5, v12, v3, v2 op_sel:[1,0,0]
	v_pk_fma_f16 v9, v12, v3, v2 op_sel:[1,0,0] neg_lo:[1,0,0] neg_hi:[1,0,0]
	v_pk_fma_f16 v2, v12, v3, v2 op_sel:[1,0,0] neg_lo:[0,0,1] neg_hi:[0,0,1]
	v_pk_add_f16 v3, v5, v7 op_sel:[0,1] op_sel_hi:[1,0]
	v_pk_add_f16 v5, v5, v7 op_sel:[0,1] op_sel_hi:[1,0] neg_lo:[0,1] neg_hi:[0,1]
	v_pk_add_f16 v9, v9, v7 op_sel:[0,1] op_sel_hi:[1,0] neg_lo:[0,1] neg_hi:[0,1]
	;; [unrolled: 1-line block ×3, first 2 shown]
	v_bfi_b32 v5, 0xffff, v3, v5
	v_bfi_b32 v7, 0xffff, v9, v2
	v_lshlrev_b64 v[2:3], 2, v[18:19]
	ds_write_b32 v54, v5
	ds_write_b32 v0, v7 offset:3168
	ds_read_b32 v5, v53
	ds_read_b32 v7, v0 offset:2992
	v_add_co_u32 v2, s1, s4, v2
	v_add_co_ci_u32_e64 v3, s1, s5, v3, s1
	global_load_dword v2, v[2:3], off
	s_waitcnt lgkmcnt(0)
	v_pk_add_f16 v3, v5, v7 neg_lo:[0,1] neg_hi:[0,1]
	v_pk_add_f16 v5, v5, v7
	v_bfi_b32 v7, 0xffff, v3, v5
	v_bfi_b32 v3, 0xffff, v5, v3
	v_pk_mul_f16 v5, v7, 0.5 op_sel_hi:[1,0]
	v_pk_mul_f16 v3, v3, 0.5 op_sel_hi:[1,0]
	s_waitcnt vmcnt(5)
	v_pk_mul_f16 v9, v25, v5 op_sel_hi:[0,1]
	v_pk_fma_f16 v7, v25, v5, v3 op_sel:[1,0,0]
	v_pk_fma_f16 v12, v25, v5, v3 op_sel:[1,0,0] neg_lo:[1,0,0] neg_hi:[1,0,0]
	v_pk_fma_f16 v3, v25, v5, v3 op_sel:[1,0,0] neg_lo:[0,0,1] neg_hi:[0,0,1]
	v_pk_add_f16 v5, v7, v9 op_sel:[0,1] op_sel_hi:[1,0]
	v_pk_add_f16 v7, v7, v9 op_sel:[0,1] op_sel_hi:[1,0] neg_lo:[0,1] neg_hi:[0,1]
	v_pk_add_f16 v12, v12, v9 op_sel:[0,1] op_sel_hi:[1,0] neg_lo:[0,1] neg_hi:[0,1]
	v_pk_add_f16 v3, v3, v9 op_sel:[0,1] op_sel_hi:[1,0] neg_lo:[0,1] neg_hi:[0,1]
	v_bfi_b32 v5, 0xffff, v5, v7
	v_bfi_b32 v3, 0xffff, v12, v3
	ds_write_b32 v53, v5
	ds_write_b32 v0, v3 offset:2992
	ds_read_b32 v3, v52
	ds_read_b32 v5, v0 offset:2816
	s_waitcnt lgkmcnt(0)
	v_pk_add_f16 v7, v3, v5 neg_lo:[0,1] neg_hi:[0,1]
	v_pk_add_f16 v3, v3, v5
	v_bfi_b32 v5, 0xffff, v7, v3
	v_bfi_b32 v3, 0xffff, v3, v7
	v_pk_mul_f16 v5, v5, 0.5 op_sel_hi:[1,0]
	v_pk_mul_f16 v3, v3, 0.5 op_sel_hi:[1,0]
	s_waitcnt vmcnt(4)
	v_pk_mul_f16 v9, v6, v5 op_sel_hi:[0,1]
	v_pk_fma_f16 v7, v6, v5, v3 op_sel:[1,0,0]
	v_pk_fma_f16 v12, v6, v5, v3 op_sel:[1,0,0] neg_lo:[1,0,0] neg_hi:[1,0,0]
	v_pk_fma_f16 v3, v6, v5, v3 op_sel:[1,0,0] neg_lo:[0,0,1] neg_hi:[0,0,1]
	v_pk_add_f16 v5, v7, v9 op_sel:[0,1] op_sel_hi:[1,0]
	v_pk_add_f16 v6, v7, v9 op_sel:[0,1] op_sel_hi:[1,0] neg_lo:[0,1] neg_hi:[0,1]
	v_pk_add_f16 v7, v12, v9 op_sel:[0,1] op_sel_hi:[1,0] neg_lo:[0,1] neg_hi:[0,1]
	v_pk_add_f16 v3, v3, v9 op_sel:[0,1] op_sel_hi:[1,0] neg_lo:[0,1] neg_hi:[0,1]
	v_bfi_b32 v5, 0xffff, v5, v6
	v_bfi_b32 v3, 0xffff, v7, v3
	ds_write_b32 v52, v5
	ds_write_b32 v0, v3 offset:2816
	ds_read_b32 v3, v51
	ds_read_b32 v5, v0 offset:2640
	;; [unrolled: 22-line block ×5, first 2 shown]
	s_waitcnt lgkmcnt(0)
	v_pk_add_f16 v4, v1, v3 neg_lo:[0,1] neg_hi:[0,1]
	v_pk_add_f16 v1, v1, v3
	v_bfi_b32 v3, 0xffff, v4, v1
	v_bfi_b32 v1, 0xffff, v1, v4
	v_pk_mul_f16 v3, v3, 0.5 op_sel_hi:[1,0]
	v_pk_mul_f16 v1, v1, 0.5 op_sel_hi:[1,0]
	s_waitcnt vmcnt(0)
	v_pk_fma_f16 v4, v2, v3, v1 op_sel:[1,0,0]
	v_pk_mul_f16 v5, v2, v3 op_sel_hi:[0,1]
	v_pk_fma_f16 v6, v2, v3, v1 op_sel:[1,0,0] neg_lo:[1,0,0] neg_hi:[1,0,0]
	v_pk_fma_f16 v1, v2, v3, v1 op_sel:[1,0,0] neg_lo:[0,0,1] neg_hi:[0,0,1]
	v_pk_add_f16 v2, v4, v5 op_sel:[0,1] op_sel_hi:[1,0]
	v_pk_add_f16 v3, v4, v5 op_sel:[0,1] op_sel_hi:[1,0] neg_lo:[0,1] neg_hi:[0,1]
	v_pk_add_f16 v4, v6, v5 op_sel:[0,1] op_sel_hi:[1,0] neg_lo:[0,1] neg_hi:[0,1]
	;; [unrolled: 1-line block ×3, first 2 shown]
	v_bfi_b32 v2, 0xffff, v2, v3
	v_bfi_b32 v1, 0xffff, v4, v1
	ds_write_b32 v57, v2
	ds_write_b32 v0, v1 offset:2112
	s_and_saveexec_b32 s1, s0
	s_cbranch_execz .LBB0_29
; %bb.28:
	v_mov_b32_e32 v15, v13
	v_lshlrev_b64 v[1:2], 2, v[14:15]
	v_add_co_u32 v1, s0, s4, v1
	v_add_co_ci_u32_e64 v2, s0, s5, v2, s0
	global_load_dword v1, v[1:2], off
	ds_read_b32 v2, v50
	ds_read_b32 v3, v0 offset:1936
	s_waitcnt lgkmcnt(0)
	v_pk_add_f16 v4, v2, v3 neg_lo:[0,1] neg_hi:[0,1]
	v_pk_add_f16 v2, v2, v3
	v_bfi_b32 v3, 0xffff, v4, v2
	v_bfi_b32 v2, 0xffff, v2, v4
	v_pk_mul_f16 v3, v3, 0.5 op_sel_hi:[1,0]
	v_pk_mul_f16 v2, v2, 0.5 op_sel_hi:[1,0]
	s_waitcnt vmcnt(0)
	v_pk_fma_f16 v4, v1, v3, v2 op_sel:[1,0,0]
	v_pk_mul_f16 v5, v1, v3 op_sel_hi:[0,1]
	v_pk_fma_f16 v6, v1, v3, v2 op_sel:[1,0,0] neg_lo:[1,0,0] neg_hi:[1,0,0]
	v_pk_fma_f16 v1, v1, v3, v2 op_sel:[1,0,0] neg_lo:[0,0,1] neg_hi:[0,0,1]
	v_pk_add_f16 v2, v4, v5 op_sel:[0,1] op_sel_hi:[1,0]
	v_pk_add_f16 v3, v4, v5 op_sel:[0,1] op_sel_hi:[1,0] neg_lo:[0,1] neg_hi:[0,1]
	v_pk_add_f16 v4, v6, v5 op_sel:[0,1] op_sel_hi:[1,0] neg_lo:[0,1] neg_hi:[0,1]
	;; [unrolled: 1-line block ×3, first 2 shown]
	v_bfi_b32 v2, 0xffff, v2, v3
	v_bfi_b32 v1, 0xffff, v4, v1
	ds_write_b32 v50, v2
	ds_write_b32 v0, v1 offset:1936
.LBB0_29:
	s_or_b32 exec_lo, exec_lo, s1
	s_waitcnt lgkmcnt(0)
	s_barrier
	buffer_gl0_inv
	s_and_saveexec_b32 s0, vcc_lo
	s_cbranch_execz .LBB0_32
; %bb.30:
	v_add_nc_u32_e32 v19, 0x400, v49
	ds_read2_b32 v[2:3], v49 offset1:44
	ds_read2_b32 v[4:5], v49 offset0:88 offset1:132
	ds_read2_b32 v[6:7], v49 offset0:176 offset1:220
	v_mov_b32_e32 v9, 0
	v_add_co_u32 v0, vcc_lo, s2, v16
	ds_read2_b32 v[15:16], v19 offset0:96 offset1:140
	ds_read2_b32 v[13:14], v19 offset0:8 offset1:52
	v_lshlrev_b64 v[11:12], 2, v[8:9]
	v_add_co_ci_u32_e32 v1, vcc_lo, s3, v17, vcc_lo
	ds_read2_b32 v[19:20], v19 offset0:184 offset1:228
	v_add_co_u32 v17, vcc_lo, v0, v11
	v_add_co_ci_u32_e32 v18, vcc_lo, v1, v12, vcc_lo
	v_add_nc_u32_e32 v11, 0x800, v49
	v_add_nc_u32_e32 v12, 0xc00, v49
	s_waitcnt lgkmcnt(5)
	global_store_dword v[17:18], v2, off
	global_store_dword v[17:18], v3, off offset:176
	s_waitcnt lgkmcnt(4)
	global_store_dword v[17:18], v4, off offset:352
	global_store_dword v[17:18], v5, off offset:528
	s_waitcnt lgkmcnt(3)
	global_store_dword v[17:18], v6, off offset:704
	;; [unrolled: 3-line block ×3, first 2 shown]
	global_store_dword v[17:18], v14, off offset:1232
	ds_read2_b32 v[2:3], v11 offset0:16 offset1:60
	ds_read2_b32 v[4:5], v11 offset0:104 offset1:148
	;; [unrolled: 1-line block ×3, first 2 shown]
	v_mov_b32_e32 v11, v9
	ds_read2_b32 v[12:13], v12 offset0:24 offset1:68
	global_store_dword v[17:18], v16, off offset:1584
	ds_read_b32 v16, v49 offset:3520
	v_add_co_u32 v14, vcc_lo, 0x800, v17
	v_lshlrev_b64 v[10:11], 2, v[10:11]
	global_store_dword v[17:18], v15, off offset:1408
	v_add_co_ci_u32_e32 v15, vcc_lo, 0, v18, vcc_lo
	s_waitcnt lgkmcnt(5)
	global_store_dword v[17:18], v19, off offset:1760
	global_store_dword v[17:18], v20, off offset:1936
	v_add_co_u32 v10, vcc_lo, v0, v10
	v_add_co_ci_u32_e32 v11, vcc_lo, v1, v11, vcc_lo
	v_cmp_eq_u32_e32 vcc_lo, 43, v8
	s_waitcnt lgkmcnt(4)
	global_store_dword v[14:15], v2, off offset:64
	global_store_dword v[14:15], v3, off offset:240
	s_waitcnt lgkmcnt(3)
	global_store_dword v[14:15], v4, off offset:416
	global_store_dword v[14:15], v5, off offset:592
	s_waitcnt lgkmcnt(2)
	global_store_dword v[10:11], v6, off
	global_store_dword v[14:15], v7, off offset:944
	s_waitcnt lgkmcnt(1)
	global_store_dword v[14:15], v12, off offset:1120
	global_store_dword v[14:15], v13, off offset:1296
	s_waitcnt lgkmcnt(0)
	global_store_dword v[14:15], v16, off offset:1472
	s_and_b32 exec_lo, exec_lo, vcc_lo
	s_cbranch_execz .LBB0_32
; %bb.31:
	ds_read_b32 v2, v9 offset:3696
	v_add_co_u32 v0, vcc_lo, 0x800, v0
	v_add_co_ci_u32_e32 v1, vcc_lo, 0, v1, vcc_lo
	s_waitcnt lgkmcnt(0)
	global_store_dword v[0:1], v2, off offset:1648
.LBB0_32:
	s_endpgm
	.section	.rodata,"a",@progbits
	.p2align	6, 0x0
	.amdhsa_kernel fft_rtc_fwd_len924_factors_2_2_3_7_11_wgs_44_tpt_44_halfLds_half_ip_CI_unitstride_sbrr_R2C_dirReg
		.amdhsa_group_segment_fixed_size 0
		.amdhsa_private_segment_fixed_size 0
		.amdhsa_kernarg_size 88
		.amdhsa_user_sgpr_count 6
		.amdhsa_user_sgpr_private_segment_buffer 1
		.amdhsa_user_sgpr_dispatch_ptr 0
		.amdhsa_user_sgpr_queue_ptr 0
		.amdhsa_user_sgpr_kernarg_segment_ptr 1
		.amdhsa_user_sgpr_dispatch_id 0
		.amdhsa_user_sgpr_flat_scratch_init 0
		.amdhsa_user_sgpr_private_segment_size 0
		.amdhsa_wavefront_size32 1
		.amdhsa_uses_dynamic_stack 0
		.amdhsa_system_sgpr_private_segment_wavefront_offset 0
		.amdhsa_system_sgpr_workgroup_id_x 1
		.amdhsa_system_sgpr_workgroup_id_y 0
		.amdhsa_system_sgpr_workgroup_id_z 0
		.amdhsa_system_sgpr_workgroup_info 0
		.amdhsa_system_vgpr_workitem_id 0
		.amdhsa_next_free_vgpr 170
		.amdhsa_next_free_sgpr 21
		.amdhsa_reserve_vcc 1
		.amdhsa_reserve_flat_scratch 0
		.amdhsa_float_round_mode_32 0
		.amdhsa_float_round_mode_16_64 0
		.amdhsa_float_denorm_mode_32 3
		.amdhsa_float_denorm_mode_16_64 3
		.amdhsa_dx10_clamp 1
		.amdhsa_ieee_mode 1
		.amdhsa_fp16_overflow 0
		.amdhsa_workgroup_processor_mode 1
		.amdhsa_memory_ordered 1
		.amdhsa_forward_progress 0
		.amdhsa_shared_vgpr_count 0
		.amdhsa_exception_fp_ieee_invalid_op 0
		.amdhsa_exception_fp_denorm_src 0
		.amdhsa_exception_fp_ieee_div_zero 0
		.amdhsa_exception_fp_ieee_overflow 0
		.amdhsa_exception_fp_ieee_underflow 0
		.amdhsa_exception_fp_ieee_inexact 0
		.amdhsa_exception_int_div_zero 0
	.end_amdhsa_kernel
	.text
.Lfunc_end0:
	.size	fft_rtc_fwd_len924_factors_2_2_3_7_11_wgs_44_tpt_44_halfLds_half_ip_CI_unitstride_sbrr_R2C_dirReg, .Lfunc_end0-fft_rtc_fwd_len924_factors_2_2_3_7_11_wgs_44_tpt_44_halfLds_half_ip_CI_unitstride_sbrr_R2C_dirReg
                                        ; -- End function
	.section	.AMDGPU.csdata,"",@progbits
; Kernel info:
; codeLenInByte = 16112
; NumSgprs: 23
; NumVgprs: 170
; ScratchSize: 0
; MemoryBound: 0
; FloatMode: 240
; IeeeMode: 1
; LDSByteSize: 0 bytes/workgroup (compile time only)
; SGPRBlocks: 2
; VGPRBlocks: 21
; NumSGPRsForWavesPerEU: 23
; NumVGPRsForWavesPerEU: 170
; Occupancy: 5
; WaveLimiterHint : 1
; COMPUTE_PGM_RSRC2:SCRATCH_EN: 0
; COMPUTE_PGM_RSRC2:USER_SGPR: 6
; COMPUTE_PGM_RSRC2:TRAP_HANDLER: 0
; COMPUTE_PGM_RSRC2:TGID_X_EN: 1
; COMPUTE_PGM_RSRC2:TGID_Y_EN: 0
; COMPUTE_PGM_RSRC2:TGID_Z_EN: 0
; COMPUTE_PGM_RSRC2:TIDIG_COMP_CNT: 0
	.text
	.p2alignl 6, 3214868480
	.fill 48, 4, 3214868480
	.type	__hip_cuid_8bd4737e9ede6686,@object ; @__hip_cuid_8bd4737e9ede6686
	.section	.bss,"aw",@nobits
	.globl	__hip_cuid_8bd4737e9ede6686
__hip_cuid_8bd4737e9ede6686:
	.byte	0                               ; 0x0
	.size	__hip_cuid_8bd4737e9ede6686, 1

	.ident	"AMD clang version 19.0.0git (https://github.com/RadeonOpenCompute/llvm-project roc-6.4.0 25133 c7fe45cf4b819c5991fe208aaa96edf142730f1d)"
	.section	".note.GNU-stack","",@progbits
	.addrsig
	.addrsig_sym __hip_cuid_8bd4737e9ede6686
	.amdgpu_metadata
---
amdhsa.kernels:
  - .args:
      - .actual_access:  read_only
        .address_space:  global
        .offset:         0
        .size:           8
        .value_kind:     global_buffer
      - .offset:         8
        .size:           8
        .value_kind:     by_value
      - .actual_access:  read_only
        .address_space:  global
        .offset:         16
        .size:           8
        .value_kind:     global_buffer
      - .actual_access:  read_only
        .address_space:  global
        .offset:         24
        .size:           8
        .value_kind:     global_buffer
      - .offset:         32
        .size:           8
        .value_kind:     by_value
      - .actual_access:  read_only
        .address_space:  global
        .offset:         40
        .size:           8
        .value_kind:     global_buffer
      - .actual_access:  read_only
        .address_space:  global
        .offset:         48
        .size:           8
        .value_kind:     global_buffer
      - .offset:         56
        .size:           4
        .value_kind:     by_value
      - .actual_access:  read_only
        .address_space:  global
        .offset:         64
        .size:           8
        .value_kind:     global_buffer
      - .actual_access:  read_only
        .address_space:  global
        .offset:         72
        .size:           8
        .value_kind:     global_buffer
      - .address_space:  global
        .offset:         80
        .size:           8
        .value_kind:     global_buffer
    .group_segment_fixed_size: 0
    .kernarg_segment_align: 8
    .kernarg_segment_size: 88
    .language:       OpenCL C
    .language_version:
      - 2
      - 0
    .max_flat_workgroup_size: 44
    .name:           fft_rtc_fwd_len924_factors_2_2_3_7_11_wgs_44_tpt_44_halfLds_half_ip_CI_unitstride_sbrr_R2C_dirReg
    .private_segment_fixed_size: 0
    .sgpr_count:     23
    .sgpr_spill_count: 0
    .symbol:         fft_rtc_fwd_len924_factors_2_2_3_7_11_wgs_44_tpt_44_halfLds_half_ip_CI_unitstride_sbrr_R2C_dirReg.kd
    .uniform_work_group_size: 1
    .uses_dynamic_stack: false
    .vgpr_count:     170
    .vgpr_spill_count: 0
    .wavefront_size: 32
    .workgroup_processor_mode: 1
amdhsa.target:   amdgcn-amd-amdhsa--gfx1030
amdhsa.version:
  - 1
  - 2
...

	.end_amdgpu_metadata
